;; amdgpu-corpus repo=ROCm/rocFFT kind=compiled arch=gfx906 opt=O3
	.text
	.amdgcn_target "amdgcn-amd-amdhsa--gfx906"
	.amdhsa_code_object_version 6
	.protected	fft_rtc_fwd_len1200_factors_5_5_16_3_wgs_225_tpt_75_halfLds_half_ip_CI_unitstride_sbrr_C2R_dirReg ; -- Begin function fft_rtc_fwd_len1200_factors_5_5_16_3_wgs_225_tpt_75_halfLds_half_ip_CI_unitstride_sbrr_C2R_dirReg
	.globl	fft_rtc_fwd_len1200_factors_5_5_16_3_wgs_225_tpt_75_halfLds_half_ip_CI_unitstride_sbrr_C2R_dirReg
	.p2align	8
	.type	fft_rtc_fwd_len1200_factors_5_5_16_3_wgs_225_tpt_75_halfLds_half_ip_CI_unitstride_sbrr_C2R_dirReg,@function
fft_rtc_fwd_len1200_factors_5_5_16_3_wgs_225_tpt_75_halfLds_half_ip_CI_unitstride_sbrr_C2R_dirReg: ; @fft_rtc_fwd_len1200_factors_5_5_16_3_wgs_225_tpt_75_halfLds_half_ip_CI_unitstride_sbrr_C2R_dirReg
; %bb.0:
	s_load_dwordx2 s[12:13], s[4:5], 0x50
	s_load_dwordx4 s[8:11], s[4:5], 0x0
	s_load_dwordx2 s[2:3], s[4:5], 0x18
	v_mul_u32_u24_e32 v1, 0x36a, v0
	v_lshrrev_b32_e32 v1, 16, v1
	v_mad_u64_u32 v[1:2], s[0:1], s6, 3, v[1:2]
	v_mov_b32_e32 v5, 0
	s_waitcnt lgkmcnt(0)
	v_cmp_lt_u64_e64 s[0:1], s[10:11], 2
	v_mov_b32_e32 v2, v5
	v_mov_b32_e32 v3, 0
	;; [unrolled: 1-line block ×3, first 2 shown]
	s_and_b64 vcc, exec, s[0:1]
	v_mov_b32_e32 v4, 0
	v_mov_b32_e32 v9, v1
	s_cbranch_vccnz .LBB0_8
; %bb.1:
	s_load_dwordx2 s[0:1], s[4:5], 0x10
	s_add_u32 s6, s2, 8
	s_addc_u32 s7, s3, 0
	v_mov_b32_e32 v3, 0
	v_mov_b32_e32 v8, v2
	s_waitcnt lgkmcnt(0)
	s_add_u32 s16, s0, 8
	s_mov_b64 s[14:15], 1
	v_mov_b32_e32 v4, 0
	s_addc_u32 s17, s1, 0
	v_mov_b32_e32 v7, v1
.LBB0_2:                                ; =>This Inner Loop Header: Depth=1
	s_load_dwordx2 s[18:19], s[16:17], 0x0
                                        ; implicit-def: $vgpr9_vgpr10
	s_waitcnt lgkmcnt(0)
	v_or_b32_e32 v6, s19, v8
	v_cmp_ne_u64_e32 vcc, 0, v[5:6]
	s_and_saveexec_b64 s[0:1], vcc
	s_xor_b64 s[20:21], exec, s[0:1]
	s_cbranch_execz .LBB0_4
; %bb.3:                                ;   in Loop: Header=BB0_2 Depth=1
	v_cvt_f32_u32_e32 v2, s18
	v_cvt_f32_u32_e32 v6, s19
	s_sub_u32 s0, 0, s18
	s_subb_u32 s1, 0, s19
	v_mac_f32_e32 v2, 0x4f800000, v6
	v_rcp_f32_e32 v2, v2
	v_mul_f32_e32 v2, 0x5f7ffffc, v2
	v_mul_f32_e32 v6, 0x2f800000, v2
	v_trunc_f32_e32 v6, v6
	v_mac_f32_e32 v2, 0xcf800000, v6
	v_cvt_u32_f32_e32 v6, v6
	v_cvt_u32_f32_e32 v2, v2
	v_mul_lo_u32 v9, s0, v6
	v_mul_hi_u32 v10, s0, v2
	v_mul_lo_u32 v12, s1, v2
	v_mul_lo_u32 v11, s0, v2
	v_add_u32_e32 v9, v10, v9
	v_add_u32_e32 v9, v9, v12
	v_mul_hi_u32 v10, v2, v11
	v_mul_lo_u32 v12, v2, v9
	v_mul_hi_u32 v14, v2, v9
	v_mul_hi_u32 v13, v6, v11
	v_mul_lo_u32 v11, v6, v11
	v_mul_hi_u32 v15, v6, v9
	v_add_co_u32_e32 v10, vcc, v10, v12
	v_addc_co_u32_e32 v12, vcc, 0, v14, vcc
	v_mul_lo_u32 v9, v6, v9
	v_add_co_u32_e32 v10, vcc, v10, v11
	v_addc_co_u32_e32 v10, vcc, v12, v13, vcc
	v_addc_co_u32_e32 v11, vcc, 0, v15, vcc
	v_add_co_u32_e32 v9, vcc, v10, v9
	v_addc_co_u32_e32 v10, vcc, 0, v11, vcc
	v_add_co_u32_e32 v2, vcc, v2, v9
	v_addc_co_u32_e32 v6, vcc, v6, v10, vcc
	v_mul_lo_u32 v9, s0, v6
	v_mul_hi_u32 v10, s0, v2
	v_mul_lo_u32 v11, s1, v2
	v_mul_lo_u32 v12, s0, v2
	v_add_u32_e32 v9, v10, v9
	v_add_u32_e32 v9, v9, v11
	v_mul_lo_u32 v13, v2, v9
	v_mul_hi_u32 v14, v2, v12
	v_mul_hi_u32 v15, v2, v9
	;; [unrolled: 1-line block ×3, first 2 shown]
	v_mul_lo_u32 v12, v6, v12
	v_mul_hi_u32 v10, v6, v9
	v_add_co_u32_e32 v13, vcc, v14, v13
	v_addc_co_u32_e32 v14, vcc, 0, v15, vcc
	v_mul_lo_u32 v9, v6, v9
	v_add_co_u32_e32 v12, vcc, v13, v12
	v_addc_co_u32_e32 v11, vcc, v14, v11, vcc
	v_addc_co_u32_e32 v10, vcc, 0, v10, vcc
	v_add_co_u32_e32 v9, vcc, v11, v9
	v_addc_co_u32_e32 v10, vcc, 0, v10, vcc
	v_add_co_u32_e32 v2, vcc, v2, v9
	v_addc_co_u32_e32 v6, vcc, v6, v10, vcc
	v_mad_u64_u32 v[9:10], s[0:1], v7, v6, 0
	v_mul_hi_u32 v11, v7, v2
	v_add_co_u32_e32 v13, vcc, v11, v9
	v_addc_co_u32_e32 v14, vcc, 0, v10, vcc
	v_mad_u64_u32 v[9:10], s[0:1], v8, v2, 0
	v_mad_u64_u32 v[11:12], s[0:1], v8, v6, 0
	v_add_co_u32_e32 v2, vcc, v13, v9
	v_addc_co_u32_e32 v2, vcc, v14, v10, vcc
	v_addc_co_u32_e32 v6, vcc, 0, v12, vcc
	v_add_co_u32_e32 v2, vcc, v2, v11
	v_addc_co_u32_e32 v6, vcc, 0, v6, vcc
	v_mul_lo_u32 v11, s19, v2
	v_mul_lo_u32 v12, s18, v6
	v_mad_u64_u32 v[9:10], s[0:1], s18, v2, 0
	v_add3_u32 v10, v10, v12, v11
	v_sub_u32_e32 v11, v8, v10
	v_mov_b32_e32 v12, s19
	v_sub_co_u32_e32 v9, vcc, v7, v9
	v_subb_co_u32_e64 v11, s[0:1], v11, v12, vcc
	v_subrev_co_u32_e64 v12, s[0:1], s18, v9
	v_subbrev_co_u32_e64 v11, s[0:1], 0, v11, s[0:1]
	v_cmp_le_u32_e64 s[0:1], s19, v11
	v_cndmask_b32_e64 v13, 0, -1, s[0:1]
	v_cmp_le_u32_e64 s[0:1], s18, v12
	v_cndmask_b32_e64 v12, 0, -1, s[0:1]
	v_cmp_eq_u32_e64 s[0:1], s19, v11
	v_cndmask_b32_e64 v11, v13, v12, s[0:1]
	v_add_co_u32_e64 v12, s[0:1], 2, v2
	v_addc_co_u32_e64 v13, s[0:1], 0, v6, s[0:1]
	v_add_co_u32_e64 v14, s[0:1], 1, v2
	v_addc_co_u32_e64 v15, s[0:1], 0, v6, s[0:1]
	v_subb_co_u32_e32 v10, vcc, v8, v10, vcc
	v_cmp_ne_u32_e64 s[0:1], 0, v11
	v_cmp_le_u32_e32 vcc, s19, v10
	v_cndmask_b32_e64 v11, v15, v13, s[0:1]
	v_cndmask_b32_e64 v13, 0, -1, vcc
	v_cmp_le_u32_e32 vcc, s18, v9
	v_cndmask_b32_e64 v9, 0, -1, vcc
	v_cmp_eq_u32_e32 vcc, s19, v10
	v_cndmask_b32_e32 v9, v13, v9, vcc
	v_cmp_ne_u32_e32 vcc, 0, v9
	v_cndmask_b32_e32 v10, v6, v11, vcc
	v_cndmask_b32_e64 v6, v14, v12, s[0:1]
	v_cndmask_b32_e32 v9, v2, v6, vcc
.LBB0_4:                                ;   in Loop: Header=BB0_2 Depth=1
	s_andn2_saveexec_b64 s[0:1], s[20:21]
	s_cbranch_execz .LBB0_6
; %bb.5:                                ;   in Loop: Header=BB0_2 Depth=1
	v_cvt_f32_u32_e32 v2, s18
	s_sub_i32 s20, 0, s18
	v_rcp_iflag_f32_e32 v2, v2
	v_mul_f32_e32 v2, 0x4f7ffffe, v2
	v_cvt_u32_f32_e32 v2, v2
	v_mul_lo_u32 v6, s20, v2
	v_mul_hi_u32 v6, v2, v6
	v_add_u32_e32 v2, v2, v6
	v_mul_hi_u32 v2, v7, v2
	v_mul_lo_u32 v6, v2, s18
	v_add_u32_e32 v9, 1, v2
	v_sub_u32_e32 v6, v7, v6
	v_subrev_u32_e32 v10, s18, v6
	v_cmp_le_u32_e32 vcc, s18, v6
	v_cndmask_b32_e32 v6, v6, v10, vcc
	v_cndmask_b32_e32 v2, v2, v9, vcc
	v_add_u32_e32 v9, 1, v2
	v_cmp_le_u32_e32 vcc, s18, v6
	v_cndmask_b32_e32 v9, v2, v9, vcc
	v_mov_b32_e32 v10, v5
.LBB0_6:                                ;   in Loop: Header=BB0_2 Depth=1
	s_or_b64 exec, exec, s[0:1]
	v_mul_lo_u32 v2, v10, s18
	v_mul_lo_u32 v6, v9, s19
	v_mad_u64_u32 v[11:12], s[0:1], v9, s18, 0
	s_load_dwordx2 s[0:1], s[6:7], 0x0
	s_add_u32 s14, s14, 1
	v_add3_u32 v2, v12, v6, v2
	v_sub_co_u32_e32 v6, vcc, v7, v11
	v_subb_co_u32_e32 v2, vcc, v8, v2, vcc
	s_waitcnt lgkmcnt(0)
	v_mul_lo_u32 v2, s0, v2
	v_mul_lo_u32 v7, s1, v6
	v_mad_u64_u32 v[3:4], s[0:1], s0, v6, v[3:4]
	s_addc_u32 s15, s15, 0
	s_add_u32 s6, s6, 8
	v_add3_u32 v4, v7, v4, v2
	v_mov_b32_e32 v6, s10
	v_mov_b32_e32 v7, s11
	s_addc_u32 s7, s7, 0
	v_cmp_ge_u64_e32 vcc, s[14:15], v[6:7]
	s_add_u32 s16, s16, 8
	s_addc_u32 s17, s17, 0
	s_cbranch_vccnz .LBB0_8
; %bb.7:                                ;   in Loop: Header=BB0_2 Depth=1
	v_mov_b32_e32 v7, v9
	v_mov_b32_e32 v8, v10
	s_branch .LBB0_2
.LBB0_8:
	s_lshl_b64 s[0:1], s[10:11], 3
	s_add_u32 s0, s2, s0
	s_addc_u32 s1, s3, s1
	s_load_dwordx2 s[0:1], s[0:1], 0x0
	s_mov_b32 s2, 0xaaaaaaab
	v_mul_hi_u32 v5, v1, s2
	s_mov_b32 s2, 0x369d037
	s_waitcnt lgkmcnt(0)
	v_mul_lo_u32 v6, s0, v10
	v_mul_lo_u32 v7, s1, v9
	v_mad_u64_u32 v[2:3], s[0:1], s0, v9, v[3:4]
	s_load_dwordx2 s[0:1], s[4:5], 0x20
	v_lshrrev_b32_e32 v4, 1, v5
	v_mul_hi_u32 v5, v0, s2
	v_lshl_add_u32 v4, v4, 1, v4
	v_add3_u32 v3, v7, v3, v6
	v_sub_u32_e32 v1, v1, v4
	v_mul_u32_u24_e32 v23, 0x4b1, v1
	s_waitcnt lgkmcnt(0)
	v_cmp_gt_u64_e64 s[0:1], s[0:1], v[9:10]
	v_mul_u32_u24_e32 v1, 0x4b, v5
	v_lshlrev_b64 v[2:3], 2, v[2:3]
	v_sub_u32_e32 v0, v0, v1
	v_lshlrev_b32_e32 v24, 2, v23
	s_and_saveexec_b64 s[2:3], s[0:1]
	s_cbranch_execz .LBB0_12
; %bb.9:
	v_mov_b32_e32 v1, 0
	v_mov_b32_e32 v4, s13
	v_add_co_u32_e32 v5, vcc, s12, v2
	v_lshlrev_b64 v[6:7], 2, v[0:1]
	v_addc_co_u32_e32 v4, vcc, v4, v3, vcc
	v_add_co_u32_e32 v6, vcc, v5, v6
	v_addc_co_u32_e32 v7, vcc, v4, v7, vcc
	v_add_co_u32_e32 v8, vcc, 0x1000, v6
	global_load_dword v10, v[6:7], off offset:1500
	global_load_dword v11, v[6:7], off offset:1800
	;; [unrolled: 1-line block ×3, first 2 shown]
	global_load_dword v13, v[6:7], off
	global_load_dword v14, v[6:7], off offset:300
	global_load_dword v15, v[6:7], off offset:600
	;; [unrolled: 1-line block ×4, first 2 shown]
	v_addc_co_u32_e32 v9, vcc, 0, v7, vcc
	global_load_dword v18, v[6:7], off offset:2400
	global_load_dword v19, v[6:7], off offset:2700
	;; [unrolled: 1-line block ×8, first 2 shown]
	v_lshlrev_b32_e32 v1, 2, v0
	s_movk_i32 s4, 0x4a
	v_add3_u32 v1, 0, v24, v1
	v_add_u32_e32 v6, 0x400, v1
	v_cmp_eq_u32_e32 vcc, s4, v0
	v_add_u32_e32 v7, 0x600, v1
	v_add_u32_e32 v8, 0x800, v1
	;; [unrolled: 1-line block ×5, first 2 shown]
	s_waitcnt vmcnt(9)
	ds_write2_b32 v6, v16, v10 offset0:44 offset1:119
	ds_write2_b32 v7, v11, v12 offset0:66 offset1:141
	ds_write2_b32 v1, v13, v14 offset1:75
	s_waitcnt vmcnt(8)
	ds_write2_b32 v1, v15, v17 offset0:150 offset1:225
	s_waitcnt vmcnt(6)
	ds_write2_b32 v8, v18, v19 offset0:88 offset1:163
	;; [unrolled: 2-line block ×5, first 2 shown]
	s_and_saveexec_b64 s[4:5], vcc
	s_cbranch_execz .LBB0_11
; %bb.10:
	v_add_co_u32_e32 v5, vcc, 0x1000, v5
	v_addc_co_u32_e32 v6, vcc, 0, v4, vcc
	global_load_dword v0, v[5:6], off offset:704
	s_waitcnt vmcnt(0)
	ds_write_b32 v1, v0 offset:4504
	v_mov_b32_e32 v0, 0x4a
.LBB0_11:
	s_or_b64 exec, exec, s[4:5]
.LBB0_12:
	s_or_b64 exec, exec, s[2:3]
	v_lshl_add_u32 v22, v23, 2, 0
	v_lshlrev_b32_e32 v1, 2, v0
	v_add_u32_e32 v25, v22, v1
	s_waitcnt lgkmcnt(0)
	s_barrier
	v_sub_u32_e32 v6, v22, v1
	ds_read_u16 v9, v25
	ds_read_u16 v10, v6 offset:4800
	s_add_u32 s4, s8, 0x12ac
	s_addc_u32 s5, s9, 0
	v_cmp_ne_u32_e32 vcc, 0, v0
                                        ; implicit-def: $vgpr4_vgpr5
	s_waitcnt lgkmcnt(0)
	v_add_f16_e32 v7, v10, v9
	v_sub_f16_e32 v8, v9, v10
	s_and_saveexec_b64 s[2:3], vcc
	s_xor_b64 s[2:3], exec, s[2:3]
	s_cbranch_execz .LBB0_14
; %bb.13:
	v_mov_b32_e32 v1, 0
	v_lshlrev_b64 v[4:5], 2, v[0:1]
	v_mov_b32_e32 v7, s5
	v_add_co_u32_e32 v4, vcc, s4, v4
	v_addc_co_u32_e32 v5, vcc, v7, v5, vcc
	global_load_dword v4, v[4:5], off
	ds_read_u16 v5, v6 offset:4802
	ds_read_u16 v7, v25 offset:2
	v_add_f16_e32 v8, v10, v9
	v_sub_f16_e32 v9, v9, v10
	s_waitcnt lgkmcnt(0)
	v_add_f16_e32 v10, v5, v7
	v_sub_f16_e32 v5, v7, v5
	s_waitcnt vmcnt(0)
	v_lshrrev_b32_e32 v7, 16, v4
	v_fma_f16 v11, v9, v7, v8
	v_fma_f16 v12, v10, v7, v5
	v_fma_f16 v13, -v9, v7, v8
	v_fma_f16 v5, v10, v7, -v5
	v_fma_f16 v7, -v4, v10, v11
	v_fma_f16 v8, v9, v4, v12
	v_fma_f16 v10, v4, v10, v13
	v_fma_f16 v4, v9, v4, v5
	v_pack_b32_f16 v4, v10, v4
	ds_write_b32 v6, v4 offset:4800
	v_mov_b32_e32 v5, v1
	v_mov_b32_e32 v4, v0
.LBB0_14:
	s_andn2_saveexec_b64 s[2:3], s[2:3]
	s_cbranch_execz .LBB0_16
; %bb.15:
	ds_read_b32 v1, v22 offset:2400
	s_mov_b32 s6, 0xc0004000
	v_mov_b32_e32 v4, 0
	v_mov_b32_e32 v5, 0
	s_waitcnt lgkmcnt(0)
	v_pk_mul_f16 v1, v1, s6
	ds_write_b32 v22, v1 offset:2400
.LBB0_16:
	s_or_b64 exec, exec, s[2:3]
	v_lshlrev_b64 v[4:5], 2, v[4:5]
	v_mov_b32_e32 v1, s5
	v_add_co_u32_e32 v4, vcc, s4, v4
	v_addc_co_u32_e32 v5, vcc, v1, v5, vcc
	global_load_dword v1, v[4:5], off offset:300
	global_load_dword v9, v[4:5], off offset:600
	;; [unrolled: 1-line block ×4, first 2 shown]
	s_mov_b32 s2, 0x5040100
	v_perm_b32 v7, v8, v7, s2
	ds_write_b32 v25, v7
	ds_read_b32 v7, v25 offset:300
	ds_read_b32 v8, v6 offset:4500
	global_load_dword v12, v[4:5], off offset:1500
	global_load_dword v13, v[4:5], off offset:1800
	;; [unrolled: 1-line block ×3, first 2 shown]
	v_lshl_add_u32 v26, v0, 2, 0
	s_movk_i32 s2, 0x3b9c
	s_movk_i32 s4, 0x38b4
	s_waitcnt lgkmcnt(0)
	v_add_f16_e32 v4, v7, v8
	v_add_f16_sdwa v5, v8, v7 dst_sel:DWORD dst_unused:UNUSED_PAD src0_sel:WORD_1 src1_sel:WORD_1
	v_sub_f16_e32 v15, v7, v8
	v_sub_f16_sdwa v7, v7, v8 dst_sel:DWORD dst_unused:UNUSED_PAD src0_sel:WORD_1 src1_sel:WORD_1
	s_mov_b32 s5, 0xffff
	s_movk_i32 s3, 0x34f2
	v_mad_u32_u24 v40, v0, 20, 0
	v_add_u32_e32 v41, v40, v24
	v_add_u32_e32 v42, 0x5dc, v41
	v_cmp_gt_u32_e32 vcc, 15, v0
	s_waitcnt vmcnt(6)
	v_lshrrev_b32_e32 v8, 16, v1
	v_fma_f16 v16, v15, v8, v4
	v_fma_f16 v17, v5, v8, v7
	v_fma_f16 v4, -v15, v8, v4
	v_fma_f16 v7, v5, v8, -v7
	v_fma_f16 v8, -v1, v5, v16
	v_fma_f16 v16, v15, v1, v17
	v_fma_f16 v4, v1, v5, v4
	v_fma_f16 v1, v15, v1, v7
	v_pack_b32_f16 v5, v8, v16
	v_pack_b32_f16 v1, v4, v1
	ds_write_b32 v25, v5 offset:300
	ds_write_b32 v6, v1 offset:4500
	ds_read_b32 v1, v25 offset:600
	ds_read_b32 v4, v6 offset:4200
	s_waitcnt vmcnt(5)
	v_lshrrev_b32_e32 v5, 16, v9
	s_waitcnt lgkmcnt(0)
	v_add_f16_e32 v7, v1, v4
	v_add_f16_sdwa v8, v4, v1 dst_sel:DWORD dst_unused:UNUSED_PAD src0_sel:WORD_1 src1_sel:WORD_1
	v_sub_f16_e32 v15, v1, v4
	v_sub_f16_sdwa v1, v1, v4 dst_sel:DWORD dst_unused:UNUSED_PAD src0_sel:WORD_1 src1_sel:WORD_1
	v_fma_f16 v4, v15, v5, v7
	v_fma_f16 v16, v8, v5, v1
	v_fma_f16 v7, -v15, v5, v7
	v_fma_f16 v1, v8, v5, -v1
	v_fma_f16 v4, -v9, v8, v4
	v_fma_f16 v5, v15, v9, v16
	v_fma_f16 v7, v9, v8, v7
	v_fma_f16 v1, v15, v9, v1
	v_pack_b32_f16 v4, v4, v5
	v_pack_b32_f16 v1, v7, v1
	ds_write_b32 v25, v4 offset:600
	ds_write_b32 v6, v1 offset:4200
	ds_read_b32 v1, v25 offset:900
	ds_read_b32 v4, v6 offset:3900
	s_waitcnt vmcnt(4)
	v_lshrrev_b32_e32 v5, 16, v10
	s_waitcnt lgkmcnt(0)
	v_add_f16_e32 v7, v1, v4
	v_add_f16_sdwa v8, v4, v1 dst_sel:DWORD dst_unused:UNUSED_PAD src0_sel:WORD_1 src1_sel:WORD_1
	v_sub_f16_e32 v9, v1, v4
	v_sub_f16_sdwa v1, v1, v4 dst_sel:DWORD dst_unused:UNUSED_PAD src0_sel:WORD_1 src1_sel:WORD_1
	v_fma_f16 v4, v9, v5, v7
	v_fma_f16 v15, v8, v5, v1
	v_fma_f16 v7, -v9, v5, v7
	v_fma_f16 v1, v8, v5, -v1
	v_fma_f16 v4, -v10, v8, v4
	v_fma_f16 v5, v9, v10, v15
	v_fma_f16 v7, v10, v8, v7
	v_fma_f16 v1, v9, v10, v1
	v_pack_b32_f16 v4, v4, v5
	v_pack_b32_f16 v1, v7, v1
	ds_write_b32 v25, v4 offset:900
	ds_write_b32 v6, v1 offset:3900
	ds_read_b32 v1, v25 offset:1200
	ds_read_b32 v4, v6 offset:3600
	s_waitcnt vmcnt(3)
	v_lshrrev_b32_e32 v5, 16, v11
	s_waitcnt lgkmcnt(0)
	v_add_f16_e32 v7, v1, v4
	v_add_f16_sdwa v8, v4, v1 dst_sel:DWORD dst_unused:UNUSED_PAD src0_sel:WORD_1 src1_sel:WORD_1
	v_sub_f16_e32 v9, v1, v4
	v_sub_f16_sdwa v1, v1, v4 dst_sel:DWORD dst_unused:UNUSED_PAD src0_sel:WORD_1 src1_sel:WORD_1
	v_fma_f16 v4, v9, v5, v7
	v_fma_f16 v10, v8, v5, v1
	v_fma_f16 v7, -v9, v5, v7
	v_fma_f16 v1, v8, v5, -v1
	v_fma_f16 v4, -v11, v8, v4
	v_fma_f16 v5, v9, v11, v10
	v_fma_f16 v7, v11, v8, v7
	v_fma_f16 v1, v9, v11, v1
	v_pack_b32_f16 v4, v4, v5
	v_pack_b32_f16 v1, v7, v1
	ds_write_b32 v25, v4 offset:1200
	ds_write_b32 v6, v1 offset:3600
	ds_read_b32 v1, v25 offset:1500
	ds_read_b32 v4, v6 offset:3300
	s_waitcnt vmcnt(2)
	v_lshrrev_b32_e32 v5, 16, v12
	s_waitcnt lgkmcnt(0)
	v_add_f16_e32 v7, v1, v4
	v_add_f16_sdwa v8, v4, v1 dst_sel:DWORD dst_unused:UNUSED_PAD src0_sel:WORD_1 src1_sel:WORD_1
	v_sub_f16_e32 v9, v1, v4
	v_sub_f16_sdwa v1, v1, v4 dst_sel:DWORD dst_unused:UNUSED_PAD src0_sel:WORD_1 src1_sel:WORD_1
	v_fma_f16 v4, v9, v5, v7
	v_fma_f16 v10, v8, v5, v1
	v_fma_f16 v7, -v9, v5, v7
	v_fma_f16 v1, v8, v5, -v1
	v_fma_f16 v4, -v12, v8, v4
	v_fma_f16 v5, v9, v12, v10
	v_fma_f16 v7, v12, v8, v7
	v_fma_f16 v1, v9, v12, v1
	v_pack_b32_f16 v4, v4, v5
	v_pack_b32_f16 v1, v7, v1
	ds_write_b32 v25, v4 offset:1500
	ds_write_b32 v6, v1 offset:3300
	ds_read_b32 v1, v25 offset:1800
	ds_read_b32 v4, v6 offset:3000
	s_waitcnt vmcnt(1)
	v_lshrrev_b32_e32 v5, 16, v13
	s_waitcnt lgkmcnt(0)
	v_add_f16_e32 v7, v1, v4
	v_add_f16_sdwa v8, v4, v1 dst_sel:DWORD dst_unused:UNUSED_PAD src0_sel:WORD_1 src1_sel:WORD_1
	v_sub_f16_e32 v9, v1, v4
	v_sub_f16_sdwa v1, v1, v4 dst_sel:DWORD dst_unused:UNUSED_PAD src0_sel:WORD_1 src1_sel:WORD_1
	v_fma_f16 v4, v9, v5, v7
	v_fma_f16 v10, v8, v5, v1
	v_fma_f16 v7, -v9, v5, v7
	v_fma_f16 v1, v8, v5, -v1
	v_fma_f16 v4, -v13, v8, v4
	v_fma_f16 v5, v9, v13, v10
	v_fma_f16 v7, v13, v8, v7
	v_fma_f16 v1, v9, v13, v1
	v_pack_b32_f16 v4, v4, v5
	v_pack_b32_f16 v1, v7, v1
	ds_write_b32 v25, v4 offset:1800
	ds_write_b32 v6, v1 offset:3000
	ds_read_b32 v1, v25 offset:2100
	ds_read_b32 v4, v6 offset:2700
	s_waitcnt vmcnt(0)
	v_lshrrev_b32_e32 v5, 16, v14
	s_waitcnt lgkmcnt(0)
	v_add_f16_e32 v7, v1, v4
	v_add_f16_sdwa v8, v4, v1 dst_sel:DWORD dst_unused:UNUSED_PAD src0_sel:WORD_1 src1_sel:WORD_1
	v_sub_f16_e32 v9, v1, v4
	v_sub_f16_sdwa v1, v1, v4 dst_sel:DWORD dst_unused:UNUSED_PAD src0_sel:WORD_1 src1_sel:WORD_1
	v_fma_f16 v4, v9, v5, v7
	v_fma_f16 v10, v8, v5, v1
	v_fma_f16 v7, -v9, v5, v7
	v_fma_f16 v1, v8, v5, -v1
	v_fma_f16 v4, -v14, v8, v4
	v_fma_f16 v5, v9, v14, v10
	v_fma_f16 v7, v14, v8, v7
	;; [unrolled: 1-line block ×3, first 2 shown]
	v_pack_b32_f16 v4, v4, v5
	v_pack_b32_f16 v1, v7, v1
	ds_write_b32 v25, v4 offset:2100
	ds_write_b32 v6, v1 offset:2700
	v_add_u32_e32 v1, v26, v24
	v_add_u32_e32 v7, 0x400, v1
	;; [unrolled: 1-line block ×3, first 2 shown]
	s_waitcnt lgkmcnt(0)
	s_barrier
	s_barrier
	v_add_u32_e32 v9, 0x800, v1
	v_add_u32_e32 v6, 0xc00, v1
	ds_read2_b32 v[4:5], v7 offset0:59 offset1:134
	ds_read2_b32 v[10:11], v9 offset0:43 offset1:118
	;; [unrolled: 1-line block ×5, first 2 shown]
	s_waitcnt lgkmcnt(3)
	v_pk_add_f16 v8, v4, v10 neg_lo:[0,1] neg_hi:[0,1]
	s_waitcnt lgkmcnt(2)
	v_pk_add_f16 v33, v10, v12 neg_lo:[0,1] neg_hi:[0,1]
	;; [unrolled: 2-line block ×3, first 2 shown]
	v_pk_add_f16 v8, v8, v19
	v_pk_add_f16 v19, v10, v12
	v_pk_add_f16 v21, v4, v15 neg_lo:[0,1] neg_hi:[0,1]
	s_waitcnt lgkmcnt(0)
	v_pk_fma_f16 v19, v19, 0.5, v17 op_sel_hi:[1,0,1] neg_lo:[1,0,0] neg_hi:[1,0,0]
	v_pk_mul_f16 v20, v21, s2 op_sel_hi:[1,0]
	v_pk_add_f16 v27, v19, v20 op_sel:[0,1] op_sel_hi:[1,0]
	v_pk_add_f16 v19, v19, v20 op_sel:[0,1] op_sel_hi:[1,0] neg_lo:[0,1] neg_hi:[0,1]
	v_pk_mul_f16 v20, v33, s4 op_sel_hi:[1,0]
	v_pk_add_f16 v35, v19, v20 op_sel:[0,1] op_sel_hi:[1,0] neg_lo:[0,1] neg_hi:[0,1]
	v_pk_add_f16 v19, v17, v4
	v_pk_add_f16 v19, v19, v10
	;; [unrolled: 1-line block ×3, first 2 shown]
	v_pk_add_f16 v10, v10, v4 neg_lo:[0,1] neg_hi:[0,1]
	v_pk_add_f16 v12, v12, v15 neg_lo:[0,1] neg_hi:[0,1]
	v_pk_add_f16 v4, v4, v15
	v_pk_add_f16 v10, v10, v12
	v_pk_fma_f16 v4, v4, 0.5, v17 op_sel_hi:[1,0,1] neg_lo:[1,0,0] neg_hi:[1,0,0]
	v_pk_mul_f16 v12, v33, s2 op_sel_hi:[1,0]
	v_pk_add_f16 v34, v27, v20 op_sel:[0,1] op_sel_hi:[1,0]
	v_pk_add_f16 v36, v19, v15
	v_pk_add_f16 v15, v4, v12 op_sel:[0,1] op_sel_hi:[1,0] neg_lo:[0,1] neg_hi:[0,1]
	v_pk_add_f16 v4, v4, v12 op_sel:[0,1] op_sel_hi:[1,0]
	v_pk_mul_f16 v12, v21, s4 op_sel_hi:[1,0]
	v_bfi_b32 v19, s5, v34, v35
	v_pk_add_f16 v15, v15, v12 op_sel:[0,1] op_sel_hi:[1,0]
	v_pk_add_f16 v4, v4, v12 op_sel:[0,1] op_sel_hi:[1,0] neg_lo:[0,1] neg_hi:[0,1]
	v_pk_fma_f16 v37, v8, s3, v19 op_sel_hi:[1,0,1]
	ds_read_b32 v38, v1 offset:4740
	ds_read_b32 v39, v25
	ds_read2_b32 v[19:20], v1 offset0:225 offset1:240
	ds_read2_b32 v[27:28], v7 offset0:209 offset1:224
	;; [unrolled: 1-line block ×4, first 2 shown]
	v_bfi_b32 v12, s5, v15, v4
	v_bfi_b32 v4, s5, v4, v15
	v_pk_fma_f16 v12, v10, s3, v12 op_sel_hi:[1,0,1]
	v_pk_fma_f16 v4, v10, s3, v4 op_sel_hi:[1,0,1]
	v_add_u32_e32 v10, 0x5e4, v41
	s_waitcnt lgkmcnt(0)
	s_barrier
	ds_write2_b32 v10, v12, v4 offset1:1
	v_pk_add_f16 v4, v18, v5
	v_pk_add_f16 v4, v4, v11
	;; [unrolled: 1-line block ×4, first 2 shown]
	v_pk_add_f16 v12, v11, v13 neg_lo:[0,1] neg_hi:[0,1]
	v_pk_add_f16 v15, v5, v11 neg_lo:[0,1] neg_hi:[0,1]
	;; [unrolled: 1-line block ×4, first 2 shown]
	v_pk_add_f16 v5, v5, v16
	v_pk_add_f16 v21, v16, v13 neg_lo:[0,1] neg_hi:[0,1]
	v_pk_add_f16 v13, v13, v16 neg_lo:[0,1] neg_hi:[0,1]
	v_pk_add_f16 v4, v4, v16
	v_pk_add_f16 v16, v20, v28 neg_lo:[0,1] neg_hi:[0,1]
	v_pk_add_f16 v33, v32, v30 neg_lo:[0,1] neg_hi:[0,1]
	ds_write2_b32 v42, v36, v37 offset1:1
	v_pk_add_f16 v16, v16, v33
	v_pk_add_f16 v33, v28, v30
	v_pk_add_f16 v36, v20, v32 neg_lo:[0,1] neg_hi:[0,1]
	v_pk_fma_f16 v33, v33, 0.5, v39 op_sel_hi:[1,0,1] neg_lo:[1,0,0] neg_hi:[1,0,0]
	v_pk_mul_f16 v37, v36, s2 op_sel_hi:[1,0]
	v_pk_add_f16 v42, v33, v37 op_sel:[0,1] op_sel_hi:[1,0]
	v_pk_add_f16 v33, v33, v37 op_sel:[0,1] op_sel_hi:[1,0] neg_lo:[0,1] neg_hi:[0,1]
	v_pk_add_f16 v37, v28, v30 neg_lo:[0,1] neg_hi:[0,1]
	v_pk_mul_f16 v43, v37, s4 op_sel_hi:[1,0]
	v_pk_add_f16 v42, v42, v43 op_sel:[0,1] op_sel_hi:[1,0]
	v_pk_add_f16 v33, v33, v43 op_sel:[0,1] op_sel_hi:[1,0] neg_lo:[0,1] neg_hi:[0,1]
	v_pk_add_f16 v43, v39, v20
	v_pk_add_f16 v43, v43, v28
	;; [unrolled: 1-line block ×3, first 2 shown]
	v_bfi_b32 v44, s5, v42, v33
	v_pk_add_f16 v43, v43, v32
	v_pk_fma_f16 v44, v16, s3, v44 op_sel_hi:[1,0,1]
	ds_write2_b32 v41, v43, v44 offset1:1
	v_pk_add_f16 v43, v20, v32
	v_pk_add_f16 v20, v28, v20 neg_lo:[0,1] neg_hi:[0,1]
	v_pk_add_f16 v28, v30, v32 neg_lo:[0,1] neg_hi:[0,1]
	v_pk_fma_f16 v39, v43, 0.5, v39 op_sel_hi:[1,0,1] neg_lo:[1,0,0] neg_hi:[1,0,0]
	v_pk_add_f16 v20, v20, v28
	v_pk_mul_f16 v28, v37, s2 op_sel_hi:[1,0]
	v_pk_add_f16 v30, v39, v28 op_sel:[0,1] op_sel_hi:[1,0] neg_lo:[0,1] neg_hi:[0,1]
	v_pk_add_f16 v28, v39, v28 op_sel:[0,1] op_sel_hi:[1,0]
	v_pk_mul_f16 v32, v36, s4 op_sel_hi:[1,0]
	v_pk_add_f16 v30, v30, v32 op_sel:[0,1] op_sel_hi:[1,0]
	v_pk_add_f16 v28, v28, v32 op_sel:[0,1] op_sel_hi:[1,0] neg_lo:[0,1] neg_hi:[0,1]
	v_bfi_b32 v32, s5, v30, v28
	v_bfi_b32 v28, s5, v28, v30
	v_pk_fma_f16 v30, v20, s3, v32 op_sel_hi:[1,0,1]
	v_pk_fma_f16 v20, v20, s3, v28 op_sel_hi:[1,0,1]
	ds_write2_b32 v41, v30, v20 offset0:2 offset1:3
	v_bfi_b32 v20, s5, v33, v42
	v_pk_fma_f16 v16, v16, s3, v20 op_sel_hi:[1,0,1]
	v_bfi_b32 v20, s5, v35, v34
	v_pk_fma_f16 v8, v8, s3, v20 op_sel_hi:[1,0,1]
	ds_write_b32 v41, v16 offset:16
	ds_write_b32 v41, v8 offset:1516
	v_pk_fma_f16 v8, v10, 0.5, v18 op_sel_hi:[1,0,1] neg_lo:[1,0,0] neg_hi:[1,0,0]
	v_pk_mul_f16 v10, v17, s2 op_sel_hi:[1,0]
	v_pk_add_f16 v16, v8, v10 op_sel:[0,1] op_sel_hi:[1,0]
	v_pk_add_f16 v8, v8, v10 op_sel:[0,1] op_sel_hi:[1,0] neg_lo:[0,1] neg_hi:[0,1]
	v_pk_mul_f16 v10, v12, s4 op_sel_hi:[1,0]
	v_pk_add_f16 v16, v16, v10 op_sel:[0,1] op_sel_hi:[1,0]
	v_pk_add_f16 v8, v8, v10 op_sel:[0,1] op_sel_hi:[1,0] neg_lo:[0,1] neg_hi:[0,1]
	v_pk_add_f16 v15, v15, v21
	v_add_u32_e32 v10, 0xbb8, v40
	v_bfi_b32 v20, s5, v16, v8
	v_pk_fma_f16 v20, v15, s3, v20 op_sel_hi:[1,0,1]
	v_add_u32_e32 v21, v10, v24
	ds_write2_b32 v21, v4, v20 offset1:1
	v_pk_fma_f16 v4, v5, 0.5, v18 op_sel_hi:[1,0,1] neg_lo:[1,0,0] neg_hi:[1,0,0]
	v_pk_add_f16 v5, v11, v13
	v_pk_mul_f16 v11, v12, s2 op_sel_hi:[1,0]
	v_pk_add_f16 v12, v4, v11 op_sel:[0,1] op_sel_hi:[1,0] neg_lo:[0,1] neg_hi:[0,1]
	v_pk_add_f16 v4, v4, v11 op_sel:[0,1] op_sel_hi:[1,0]
	v_pk_mul_f16 v11, v17, s4 op_sel_hi:[1,0]
	v_pk_add_f16 v12, v12, v11 op_sel:[0,1] op_sel_hi:[1,0]
	v_pk_add_f16 v4, v4, v11 op_sel:[0,1] op_sel_hi:[1,0] neg_lo:[0,1] neg_hi:[0,1]
	v_bfi_b32 v11, s5, v12, v4
	v_bfi_b32 v4, s5, v4, v12
	v_pk_fma_f16 v11, v5, s3, v11 op_sel_hi:[1,0,1]
	v_pk_fma_f16 v4, v5, s3, v4 op_sel_hi:[1,0,1]
	ds_write2_b32 v21, v11, v4 offset0:2 offset1:3
	v_pk_add_f16 v4, v27, v38
	v_pk_add_f16 v5, v29, v31
	v_pk_fma_f16 v4, v4, 0.5, v19 op_sel_hi:[1,0,1] neg_lo:[1,0,0] neg_hi:[1,0,0]
	v_pk_fma_f16 v5, v5, 0.5, v19 op_sel_hi:[1,0,1] neg_lo:[1,0,0] neg_hi:[1,0,0]
	v_pk_add_f16 v11, v19, v27
	v_pk_add_f16 v13, v29, v27 neg_lo:[0,1] neg_hi:[0,1]
	v_pk_add_f16 v18, v29, v31 neg_lo:[0,1] neg_hi:[0,1]
	;; [unrolled: 1-line block ×4, first 2 shown]
	v_pk_add_f16 v13, v13, v19
	v_pk_mul_f16 v19, v18, s2 op_sel_hi:[1,0]
	v_pk_add_f16 v11, v11, v29
	v_pk_add_f16 v20, v4, v19 op_sel:[0,1] op_sel_hi:[1,0] neg_lo:[0,1] neg_hi:[0,1]
	v_pk_add_f16 v4, v19, v4 op_sel:[1,0] op_sel_hi:[0,1]
	v_pk_mul_f16 v19, v12, s4 op_sel_hi:[1,0]
	v_pk_add_f16 v17, v27, v29 neg_lo:[0,1] neg_hi:[0,1]
	v_pk_add_f16 v20, v19, v20 op_sel:[1,0] op_sel_hi:[0,1]
	v_pk_add_f16 v19, v4, v19 op_sel:[0,1] op_sel_hi:[1,0] neg_lo:[0,1] neg_hi:[0,1]
	v_pk_add_f16 v4, v11, v31
	v_pk_add_f16 v11, v38, v31 neg_lo:[0,1] neg_hi:[0,1]
	v_pk_mul_f16 v12, v12, s2 op_sel_hi:[1,0]
	v_pk_add_f16 v11, v17, v11
	v_pk_add_f16 v17, v5, v12 op_sel:[0,1] op_sel_hi:[1,0] neg_lo:[0,1] neg_hi:[0,1]
	v_pk_add_f16 v5, v5, v12 op_sel:[0,1] op_sel_hi:[1,0]
	v_pk_mul_f16 v12, v18, s4 op_sel_hi:[1,0]
	v_pk_add_f16 v18, v5, v12 op_sel:[0,1] op_sel_hi:[1,0]
	v_pk_add_f16 v12, v17, v12 op_sel:[0,1] op_sel_hi:[1,0] neg_lo:[0,1] neg_hi:[0,1]
	v_bfi_b32 v5, s5, v18, v12
	v_bfi_b32 v12, s5, v12, v18
	v_pk_fma_f16 v5, v11, s3, v5 op_sel_hi:[1,0,1]
	v_pk_fma_f16 v32, v11, s3, v12 op_sel_hi:[1,0,1]
	v_bfi_b32 v11, s5, v8, v16
	v_pk_fma_f16 v8, v13, s3, v20 op_sel_hi:[1,0,1]
	v_pk_add_f16 v4, v4, v38
	v_pk_fma_f16 v34, v13, s3, v19 op_sel_hi:[1,0,1]
	v_pk_fma_f16 v11, v15, s3, v11 op_sel_hi:[1,0,1]
	v_lshrrev_b32_e32 v33, 16, v8
	ds_write_b32 v21, v11 offset:16
	s_and_saveexec_b64 s[2:3], vcc
	s_cbranch_execz .LBB0_18
; %bb.17:
	v_lshl_add_u32 v10, v23, 2, v10
	v_add_u32_e32 v11, 0x5dc, v10
	ds_write2_b32 v11, v4, v5 offset1:1
	ds_write_b16 v10, v8 offset:1508
	v_alignbit_b32 v11, v34, v34, 16
	ds_write_b32 v10, v11 offset:1510
	ds_write_b16 v10, v33 offset:1514
	ds_write_b32 v10, v32 offset:1516
.LBB0_18:
	s_or_b64 exec, exec, s[2:3]
	v_add_u32_e32 v10, 0x200, v1
	s_waitcnt lgkmcnt(0)
	s_barrier
	ds_read_b32 v30, v25
	ds_read2_b32 v[18:19], v10 offset0:112 offset1:187
	ds_read2_b32 v[10:11], v7 offset0:134 offset1:224
	v_add_u32_e32 v7, 0xa00, v1
	ds_read2_b32 v[20:21], v7 offset0:80 offset1:155
	ds_read2_b32 v[12:13], v6 offset0:102 offset1:192
	;; [unrolled: 1-line block ×5, first 2 shown]
	v_lshrrev_b32_e32 v35, 16, v32
	s_and_saveexec_b64 s[2:3], vcc
	s_cbranch_execz .LBB0_20
; %bb.19:
	v_add_u32_e32 v4, 0xb00, v1
	ds_read_b32 v32, v1 offset:4740
	ds_read2_b32 v[8:9], v4 offset0:1 offset1:241
	v_add_u32_e32 v4, 0x380, v1
	ds_read2_b32 v[4:5], v4 offset0:1 offset1:241
	s_mov_b32 s4, 0xffff
	s_waitcnt lgkmcnt(2)
	v_lshrrev_b32_e32 v35, 16, v32
	s_waitcnt lgkmcnt(1)
	v_lshrrev_b32_e32 v33, 16, v9
	v_bfi_b32 v34, s4, v9, v8
.LBB0_20:
	s_or_b64 exec, exec, s[2:3]
	s_movk_i32 s4, 0xcd
	v_mul_lo_u16_sdwa v9, v0, s4 dst_sel:DWORD dst_unused:UNUSED_PAD src0_sel:BYTE_0 src1_sel:DWORD
	v_lshrrev_b16_e32 v31, 10, v9
	v_mul_lo_u16_e32 v9, 5, v31
	v_sub_u16_e32 v44, v0, v9
	v_mov_b32_e32 v45, 4
	v_lshlrev_b32_sdwa v9, v45, v44 dst_sel:DWORD dst_unused:UNUSED_PAD src0_sel:DWORD src1_sel:BYTE_0
	v_add_u32_e32 v27, 0x4b, v0
	global_load_dwordx4 v[36:39], v9, s[8:9]
	v_mul_lo_u16_sdwa v9, v27, s4 dst_sel:DWORD dst_unused:UNUSED_PAD src0_sel:BYTE_0 src1_sel:DWORD
	v_lshrrev_b16_e32 v9, 10, v9
	v_mul_lo_u16_e32 v28, 5, v9
	v_sub_u16_e32 v29, v27, v28
	v_lshlrev_b32_sdwa v28, v45, v29 dst_sel:DWORD dst_unused:UNUSED_PAD src0_sel:DWORD src1_sel:BYTE_0
	global_load_dwordx4 v[40:43], v28, s[8:9]
	s_waitcnt lgkmcnt(6)
	v_lshrrev_b32_e32 v46, 16, v18
	s_waitcnt lgkmcnt(5)
	v_lshrrev_b32_e32 v47, 16, v11
	;; [unrolled: 2-line block ×3, first 2 shown]
	v_add_u32_e32 v28, 0x96, v0
	s_waitcnt lgkmcnt(3)
	v_lshrrev_b32_e32 v49, 16, v13
	v_lshrrev_b32_e32 v50, 16, v19
	;; [unrolled: 1-line block ×3, first 2 shown]
	s_waitcnt lgkmcnt(1)
	v_lshrrev_b32_e32 v52, 16, v16
	s_waitcnt lgkmcnt(0)
	v_lshrrev_b32_e32 v53, 16, v14
	s_mov_b32 s2, 0xcccd
	s_movk_i32 s5, 0x64
	v_mad_u32_u24 v31, v31, s5, 0
	s_mov_b32 s7, 0xbb9c
	s_movk_i32 s10, 0x38b4
	s_mov_b32 s6, 0xb8b4
	s_movk_i32 s3, 0x34f2
	v_mad_u32_u24 v9, v9, s5, 0
	s_waitcnt vmcnt(1)
	v_mul_f16_sdwa v55, v36, v18 dst_sel:DWORD dst_unused:UNUSED_PAD src0_sel:WORD_1 src1_sel:DWORD
	v_mul_f16_sdwa v54, v36, v46 dst_sel:DWORD dst_unused:UNUSED_PAD src0_sel:WORD_1 src1_sel:DWORD
	;; [unrolled: 1-line block ×4, first 2 shown]
	v_fma_f16 v46, v36, v46, v55
	v_mul_f16_sdwa v55, v38, v20 dst_sel:DWORD dst_unused:UNUSED_PAD src0_sel:WORD_1 src1_sel:DWORD
	v_fma_f16 v47, v37, v47, v56
	v_mul_f16_sdwa v56, v38, v48 dst_sel:DWORD dst_unused:UNUSED_PAD src0_sel:WORD_1 src1_sel:DWORD
	;; [unrolled: 2-line block ×3, first 2 shown]
	v_fma_f16 v57, v37, v11, -v57
	v_mul_lo_u16_sdwa v11, v28, s4 dst_sel:DWORD dst_unused:UNUSED_PAD src0_sel:BYTE_0 src1_sel:DWORD
	v_fma_f16 v55, v39, v49, v55
	v_mul_f16_sdwa v49, v39, v49 dst_sel:DWORD dst_unused:UNUSED_PAD src0_sel:WORD_1 src1_sel:DWORD
	v_lshrrev_b16_e32 v11, 10, v11
	v_fma_f16 v49, v39, v13, -v49
	v_mul_lo_u16_e32 v13, 5, v11
	v_fma_f16 v56, v38, v20, -v56
	v_sub_u16_e32 v13, v28, v13
	s_waitcnt vmcnt(0)
	v_mul_f16_sdwa v20, v40, v50 dst_sel:DWORD dst_unused:UNUSED_PAD src0_sel:WORD_1 src1_sel:DWORD
	v_fma_f16 v54, v36, v18, -v54
	v_lshlrev_b32_sdwa v18, v45, v13 dst_sel:DWORD dst_unused:UNUSED_PAD src0_sel:DWORD src1_sel:BYTE_0
	v_mul_f16_sdwa v36, v40, v19 dst_sel:DWORD dst_unused:UNUSED_PAD src0_sel:WORD_1 src1_sel:DWORD
	v_fma_f16 v45, v40, v19, -v20
	v_mul_f16_sdwa v19, v42, v51 dst_sel:DWORD dst_unused:UNUSED_PAD src0_sel:WORD_1 src1_sel:DWORD
	v_mul_f16_sdwa v20, v42, v21 dst_sel:DWORD dst_unused:UNUSED_PAD src0_sel:WORD_1 src1_sel:DWORD
	v_fma_f16 v21, v42, v21, -v19
	v_mul_f16_sdwa v19, v41, v16 dst_sel:DWORD dst_unused:UNUSED_PAD src0_sel:WORD_1 src1_sel:DWORD
	v_mul_f16_sdwa v37, v41, v52 dst_sel:DWORD dst_unused:UNUSED_PAD src0_sel:WORD_1 src1_sel:DWORD
	v_fma_f16 v40, v40, v50, v36
	v_mul_f16_sdwa v36, v14, v43 dst_sel:DWORD dst_unused:UNUSED_PAD src0_sel:DWORD src1_sel:WORD_1
	v_fma_f16 v42, v42, v51, v20
	v_fma_f16 v50, v41, v52, v19
	;; [unrolled: 1-line block ×3, first 2 shown]
	v_fma_f16 v41, v41, v16, -v37
	global_load_dwordx4 v[36:39], v18, s[8:9]
	v_mul_f16_sdwa v20, v53, v43 dst_sel:DWORD dst_unused:UNUSED_PAD src0_sel:DWORD src1_sel:WORD_1
	v_fma_f16 v43, v14, v43, -v20
	v_lshrrev_b32_e32 v14, 16, v10
	v_lshrrev_b32_e32 v16, 16, v17
	v_sub_f16_e32 v64, v54, v49
	v_sub_f16_e32 v66, v57, v56
	v_mad_u32_u24 v11, v11, s5, 0
	s_waitcnt vmcnt(0)
	v_mul_f16_sdwa v18, v14, v36 dst_sel:DWORD dst_unused:UNUSED_PAD src0_sel:DWORD src1_sel:WORD_1
	v_fma_f16 v52, v10, v36, -v18
	v_mul_f16_sdwa v18, v16, v37 dst_sel:DWORD dst_unused:UNUSED_PAD src0_sel:DWORD src1_sel:WORD_1
	v_fma_f16 v53, v17, v37, -v18
	v_lshrrev_b32_e32 v18, 16, v12
	v_mul_f16_sdwa v19, v18, v38 dst_sel:DWORD dst_unused:UNUSED_PAD src0_sel:DWORD src1_sel:WORD_1
	v_fma_f16 v58, v12, v38, -v19
	v_lshrrev_b32_e32 v19, 16, v15
	v_mul_f16_sdwa v20, v19, v39 dst_sel:DWORD dst_unused:UNUSED_PAD src0_sel:DWORD src1_sel:WORD_1
	v_mul_f16_sdwa v10, v10, v36 dst_sel:DWORD dst_unused:UNUSED_PAD src0_sel:DWORD src1_sel:WORD_1
	v_fma_f16 v59, v15, v39, -v20
	v_add_u32_e32 v20, 0xe1, v0
	v_fma_f16 v60, v14, v36, v10
	v_mul_u32_u24_sdwa v10, v20, s2 dst_sel:DWORD dst_unused:UNUSED_PAD src0_sel:WORD_0 src1_sel:DWORD
	v_lshrrev_b32_e32 v10, 18, v10
	v_mul_lo_u16_e32 v10, 5, v10
	v_mul_f16_sdwa v12, v12, v38 dst_sel:DWORD dst_unused:UNUSED_PAD src0_sel:DWORD src1_sel:WORD_1
	v_sub_u16_e32 v10, v20, v10
	v_mul_f16_sdwa v17, v17, v37 dst_sel:DWORD dst_unused:UNUSED_PAD src0_sel:DWORD src1_sel:WORD_1
	v_mul_f16_sdwa v15, v15, v39 dst_sel:DWORD dst_unused:UNUSED_PAD src0_sel:DWORD src1_sel:WORD_1
	v_fma_f16 v62, v18, v38, v12
	v_lshlrev_b32_e32 v12, 4, v10
	v_fma_f16 v61, v16, v37, v17
	v_fma_f16 v63, v19, v39, v15
	global_load_dwordx4 v[36:39], v12, s[8:9]
	v_lshrrev_b32_e32 v14, 16, v34
	v_lshrrev_b32_e32 v18, 16, v5
	s_movk_i32 s2, 0x3b9c
	s_waitcnt vmcnt(0)
	s_barrier
	v_mul_f16_sdwa v15, v34, v38 dst_sel:DWORD dst_unused:UNUSED_PAD src0_sel:DWORD src1_sel:WORD_1
	v_mul_f16_sdwa v19, v5, v36 dst_sel:DWORD dst_unused:UNUSED_PAD src0_sel:DWORD src1_sel:WORD_1
	;; [unrolled: 1-line block ×3, first 2 shown]
	v_fma_f16 v16, v33, v38, v15
	v_mul_f16_sdwa v15, v35, v39 dst_sel:DWORD dst_unused:UNUSED_PAD src0_sel:DWORD src1_sel:WORD_1
	v_fma_f16 v19, v18, v36, v19
	v_mul_f16_sdwa v18, v18, v36 dst_sel:DWORD dst_unused:UNUSED_PAD src0_sel:DWORD src1_sel:WORD_1
	v_fma_f16 v12, v8, v37, -v12
	v_mul_f16_sdwa v8, v8, v37 dst_sel:DWORD dst_unused:UNUSED_PAD src0_sel:DWORD src1_sel:WORD_1
	v_fma_f16 v15, v32, v39, -v15
	;; [unrolled: 2-line block ×3, first 2 shown]
	v_sub_f16_e32 v5, v54, v57
	v_sub_f16_e32 v32, v49, v56
	v_fma_f16 v14, v14, v37, v8
	v_mul_f16_sdwa v8, v33, v38 dst_sel:DWORD dst_unused:UNUSED_PAD src0_sel:DWORD src1_sel:WORD_1
	v_add_f16_e32 v32, v5, v32
	v_sub_f16_e32 v5, v46, v47
	v_sub_f16_e32 v33, v55, v48
	v_add_f16_e32 v33, v5, v33
	v_mov_b32_e32 v5, 2
	v_fma_f16 v8, v34, v38, -v8
	v_fma_f16 v17, v35, v39, v17
	v_lshlrev_b32_sdwa v34, v5, v44 dst_sel:DWORD dst_unused:UNUSED_PAD src0_sel:DWORD src1_sel:BYTE_0
	v_lshrrev_b32_e32 v35, 16, v30
	v_add3_u32 v31, v31, v34, v24
	v_add_f16_e32 v34, v30, v54
	v_add_f16_e32 v36, v35, v46
	;; [unrolled: 1-line block ×8, first 2 shown]
	v_pack_b32_f16 v34, v34, v36
	v_add_f16_e32 v36, v57, v56
	v_add_f16_e32 v44, v47, v48
	v_fma_f16 v36, v36, -0.5, v30
	v_sub_f16_e32 v37, v46, v55
	v_fma_f16 v44, v44, -0.5, v35
	v_fma_f16 v38, v37, s2, v36
	v_sub_f16_e32 v39, v47, v48
	v_fma_f16 v65, v64, s7, v44
	v_fma_f16 v38, v39, s10, v38
	;; [unrolled: 1-line block ×5, first 2 shown]
	v_pack_b32_f16 v38, v38, v65
	ds_write2_b32 v31, v34, v38 offset1:5
	v_add_f16_e32 v34, v54, v49
	v_fma_f16 v30, v34, -0.5, v30
	v_sub_f16_e32 v34, v57, v54
	v_sub_f16_e32 v38, v56, v49
	v_add_f16_e32 v34, v34, v38
	v_fma_f16 v38, v39, s7, v30
	v_fma_f16 v30, v39, s2, v30
	;; [unrolled: 1-line block ×6, first 2 shown]
	v_add_f16_e32 v34, v46, v55
	v_fma_f16 v34, v34, -0.5, v35
	v_sub_f16_e32 v35, v47, v46
	v_sub_f16_e32 v46, v48, v55
	v_add_f16_e32 v35, v35, v46
	v_fma_f16 v46, v66, s2, v34
	v_fma_f16 v34, v66, s7, v34
	;; [unrolled: 1-line block ×6, first 2 shown]
	v_pack_b32_f16 v35, v38, v46
	v_pack_b32_f16 v30, v30, v34
	ds_write2_b32 v31, v35, v30 offset0:10 offset1:15
	v_fma_f16 v30, v37, s7, v36
	v_fma_f16 v30, v39, s6, v30
	;; [unrolled: 1-line block ×6, first 2 shown]
	v_sub_f16_e32 v33, v45, v41
	v_sub_f16_e32 v34, v43, v21
	v_add_f16_e32 v33, v33, v34
	v_add_f16_e32 v34, v41, v21
	v_fma_f16 v34, v34, -0.5, v6
	v_sub_f16_e32 v35, v40, v51
	v_fma_f16 v36, v35, s2, v34
	v_sub_f16_e32 v37, v50, v42
	v_fma_f16 v34, v35, s7, v34
	v_fma_f16 v36, v37, s10, v36
	;; [unrolled: 1-line block ×5, first 2 shown]
	v_sub_f16_e32 v33, v41, v45
	v_sub_f16_e32 v34, v21, v43
	v_add_f16_e32 v33, v33, v34
	v_add_f16_e32 v34, v45, v43
	v_fma_f16 v34, v34, -0.5, v6
	v_fma_f16 v39, v37, s7, v34
	v_fma_f16 v34, v37, s2, v34
	;; [unrolled: 1-line block ×6, first 2 shown]
	v_add_f16_e32 v33, v6, v45
	v_add_f16_e32 v33, v33, v41
	;; [unrolled: 1-line block ×3, first 2 shown]
	v_sub_f16_e32 v21, v41, v21
	v_sub_f16_e32 v39, v40, v50
	;; [unrolled: 1-line block ×3, first 2 shown]
	v_add_f16_e32 v39, v39, v41
	v_lshrrev_b32_e32 v6, 16, v6
	v_add_f16_e32 v41, v50, v42
	v_sub_f16_e32 v34, v45, v43
	v_fma_f16 v41, v41, -0.5, v6
	v_add_f16_e32 v33, v33, v43
	v_fma_f16 v43, v34, s7, v41
	v_fma_f16 v41, v34, s2, v41
	;; [unrolled: 1-line block ×6, first 2 shown]
	v_add_f16_e32 v41, v40, v51
	v_fma_f16 v41, v41, -0.5, v6
	v_add_f16_e32 v6, v6, v40
	v_add_f16_e32 v6, v6, v50
	v_add_f16_e32 v6, v6, v42
	v_sub_f16_e32 v40, v50, v40
	v_add_f16_e32 v44, v6, v51
	v_sub_f16_e32 v6, v42, v51
	v_add_f16_e32 v6, v40, v6
	v_fma_f16 v40, v21, s2, v41
	v_fma_f16 v21, v21, s7, v41
	;; [unrolled: 1-line block ×6, first 2 shown]
	v_add_f16_e32 v6, v53, v58
	v_sub_f16_e32 v42, v52, v53
	v_sub_f16_e32 v45, v59, v58
	v_fma_f16 v6, v6, -0.5, v7
	v_add_f16_e32 v42, v42, v45
	v_sub_f16_e32 v45, v60, v63
	v_fma_f16 v46, v45, s2, v6
	v_sub_f16_e32 v47, v61, v62
	v_fma_f16 v6, v45, s7, v6
	v_add_f16_e32 v21, v52, v59
	v_fma_f16 v46, v47, s10, v46
	v_fma_f16 v6, v47, s6, v6
	v_fma_f16 v21, v21, -0.5, v7
	v_fma_f16 v46, v42, s3, v46
	v_fma_f16 v42, v42, s3, v6
	v_sub_f16_e32 v6, v53, v52
	v_sub_f16_e32 v48, v58, v59
	v_add_f16_e32 v6, v6, v48
	v_fma_f16 v48, v47, s7, v21
	v_fma_f16 v21, v47, s2, v21
	v_lshrrev_b32_e32 v34, 16, v7
	v_add_f16_e32 v7, v7, v52
	v_fma_f16 v47, v45, s10, v48
	v_fma_f16 v21, v45, s6, v21
	;; [unrolled: 1-line block ×4, first 2 shown]
	v_add_f16_e32 v6, v7, v53
	v_sub_f16_e32 v21, v60, v61
	v_sub_f16_e32 v49, v63, v62
	v_add_f16_e32 v6, v6, v58
	v_add_f16_e32 v21, v21, v49
	;; [unrolled: 1-line block ×4, first 2 shown]
	v_sub_f16_e32 v6, v52, v59
	v_fma_f16 v49, v49, -0.5, v34
	v_sub_f16_e32 v7, v53, v58
	v_fma_f16 v50, v6, s7, v49
	v_fma_f16 v49, v6, s2, v49
	;; [unrolled: 1-line block ×6, first 2 shown]
	v_add_f16_e32 v21, v60, v63
	v_fma_f16 v21, v21, -0.5, v34
	v_add_f16_e32 v34, v34, v60
	v_add_f16_e32 v34, v34, v61
	;; [unrolled: 1-line block ×3, first 2 shown]
	v_sub_f16_e32 v51, v61, v60
	v_add_f16_e32 v52, v34, v63
	v_sub_f16_e32 v34, v62, v63
	v_add_f16_e32 v34, v51, v34
	v_fma_f16 v51, v7, s2, v21
	v_fma_f16 v7, v7, s7, v21
	;; [unrolled: 1-line block ×5, first 2 shown]
	v_pack_b32_f16 v6, v30, v32
	v_lshlrev_b32_sdwa v7, v5, v29 dst_sel:DWORD dst_unused:UNUSED_PAD src0_sel:DWORD src1_sel:BYTE_0
	ds_write_b32 v31, v6 offset:80
	v_add3_u32 v31, v9, v7, v24
	v_pack_b32_f16 v32, v35, v40
	v_pack_b32_f16 v35, v37, v41
	ds_write2_b32 v31, v32, v35 offset0:10 offset1:15
	v_sub_f16_e32 v32, v19, v14
	v_sub_f16_e32 v35, v17, v16
	v_pack_b32_f16 v7, v33, v44
	v_pack_b32_f16 v29, v36, v43
	v_add_f16_e32 v37, v14, v16
	v_add_f16_e32 v36, v32, v35
	v_lshrrev_b32_e32 v35, 16, v4
	v_pack_b32_f16 v38, v38, v39
	ds_write2_b32 v31, v7, v29 offset1:5
	v_fma_f16 v32, v37, -0.5, v35
	v_sub_f16_e32 v37, v18, v15
	ds_write_b32 v31, v38 offset:80
	v_sub_f16_e32 v31, v14, v19
	v_sub_f16_e32 v38, v16, v17
	v_lshlrev_b32_sdwa v30, v5, v13 dst_sel:DWORD dst_unused:UNUSED_PAD src0_sel:DWORD src1_sel:BYTE_0
	v_add_f16_e32 v38, v31, v38
	v_fma_f16 v31, v37, s7, v32
	v_sub_f16_e32 v39, v12, v8
	v_sub_f16_e32 v6, v18, v12
	;; [unrolled: 1-line block ×5, first 2 shown]
	v_add3_u32 v40, v11, v30, v24
	v_fma_f16 v11, v39, s6, v31
	v_fma_f16 v51, v34, s3, v21
	v_add_f16_e32 v13, v6, v13
	v_add_f16_e32 v6, v12, v8
	;; [unrolled: 1-line block ×4, first 2 shown]
	v_fma_f16 v30, v36, s3, v11
	v_add_f16_e32 v11, v19, v17
	v_fma_f16 v6, v6, -0.5, v4
	v_sub_f16_e32 v9, v19, v17
	v_sub_f16_e32 v33, v14, v16
	v_fma_f16 v7, v7, -0.5, v4
	v_fma_f16 v11, v11, -0.5, v35
	v_fma_f16 v21, v9, s2, v6
	v_fma_f16 v29, v33, s7, v7
	v_pack_b32_f16 v41, v48, v52
	v_pack_b32_f16 v43, v46, v50
	v_fma_f16 v31, v39, s2, v11
	v_fma_f16 v21, v33, s10, v21
	;; [unrolled: 1-line block ×4, first 2 shown]
	ds_write2_b32 v40, v41, v43 offset1:5
	v_pack_b32_f16 v41, v45, v51
	v_pack_b32_f16 v43, v47, v53
	v_fma_f16 v21, v13, s3, v21
	v_fma_f16 v29, v34, s3, v29
	;; [unrolled: 1-line block ×3, first 2 shown]
	ds_write2_b32 v40, v41, v43 offset0:10 offset1:15
	v_pack_b32_f16 v41, v42, v49
	ds_write_b32 v40, v41 offset:80
	s_and_saveexec_b64 s[2:3], vcc
	s_cbranch_execz .LBB0_22
; %bb.21:
	v_mul_f16_e32 v41, 0x38b4, v33
	v_mul_f16_e32 v33, 0x3b9c, v33
	;; [unrolled: 1-line block ×4, first 2 shown]
	v_add_f16_e32 v19, v35, v19
	v_add_f16_e32 v4, v4, v18
	;; [unrolled: 1-line block ×3, first 2 shown]
	v_mul_f16_e32 v43, 0x38b4, v39
	v_mul_f16_e32 v39, 0x3b9c, v39
	v_add_f16_e32 v14, v19, v14
	v_add_f16_e32 v4, v4, v12
	v_sub_f16_e32 v7, v7, v9
	v_mul_lo_u16_sdwa v9, v20, s4 dst_sel:DWORD dst_unused:UNUSED_PAD src0_sel:BYTE_0 src1_sel:DWORD
	v_mul_f16_e32 v42, 0x3b9c, v37
	v_mul_f16_e32 v37, 0x38b4, v37
	v_add_f16_e32 v14, v14, v16
	v_add_f16_e32 v4, v4, v8
	v_sub_f16_e32 v8, v11, v39
	v_lshrrev_b16_e32 v9, 10, v9
	v_mul_f16_e32 v34, 0x34f2, v34
	v_mul_f16_e32 v38, 0x34f2, v38
	v_add_f16_e32 v14, v14, v17
	v_add_f16_e32 v4, v4, v15
	;; [unrolled: 1-line block ×4, first 2 shown]
	v_sub_f16_e32 v6, v6, v40
	v_mad_u32_u24 v9, v9, s5, 0
	v_lshlrev_b32_e32 v10, 2, v10
	s_mov_b32 s4, 0x5040100
	v_mul_f16_e32 v13, 0x34f2, v13
	v_mul_f16_e32 v36, 0x34f2, v36
	v_add_f16_e32 v8, v38, v8
	v_add_f16_e32 v11, v43, v11
	;; [unrolled: 1-line block ×3, first 2 shown]
	v_sub_f16_e32 v6, v6, v41
	v_add3_u32 v9, v9, v10, v24
	v_pack_b32_f16 v4, v4, v14
	v_perm_b32 v10, v30, v21, s4
	v_add_f16_e32 v11, v36, v11
	v_add_f16_e32 v6, v13, v6
	ds_write2_b32 v9, v4, v10 offset1:5
	v_perm_b32 v4, v31, v29, s4
	v_pack_b32_f16 v7, v7, v8
	ds_write2_b32 v9, v4, v7 offset0:10 offset1:15
	v_pack_b32_f16 v4, v6, v11
	ds_write_b32 v9, v4 offset:80
.LBB0_22:
	s_or_b64 exec, exec, s[2:3]
	v_add_u32_e32 v8, 0xe00, v1
	s_waitcnt lgkmcnt(0)
	s_barrier
	ds_read_b32 v39, v25
	ds_read2_b32 v[12:13], v1 offset0:75 offset1:150
	ds_read2_b32 v[37:38], v8 offset0:79 offset1:154
	v_mov_b32_e32 v8, 41
	v_mul_lo_u16_sdwa v8, v0, v8 dst_sel:DWORD dst_unused:UNUSED_PAD src0_sel:BYTE_0 src1_sel:DWORD
	v_lshrrev_b16_e32 v53, 10, v8
	v_mul_lo_u16_e32 v8, 25, v53
	v_sub_u16_e32 v54, v0, v8
	v_mov_b32_e32 v8, 15
	v_mul_u32_u24_sdwa v8, v54, v8 dst_sel:DWORD dst_unused:UNUSED_PAD src0_sel:BYTE_0 src1_sel:DWORD
	v_lshlrev_b32_e32 v55, 2, v8
	global_load_dwordx4 v[8:11], v55, s[8:9] offset:80
	v_add_u32_e32 v4, 0x200, v1
	s_waitcnt lgkmcnt(1)
	v_lshrrev_b32_e32 v56, 16, v12
	ds_read2_b32 v[14:15], v4 offset0:97 offset1:172
	v_add_u32_e32 v32, 0x400, v1
	ds_read2_b32 v[16:17], v32 offset0:119 offset1:194
	v_add_u32_e32 v6, 0x800, v1
	ds_read2_b32 v[18:19], v6 offset0:13 offset1:88
	s_waitcnt lgkmcnt(2)
	v_lshrrev_b32_e32 v40, 16, v15
	ds_read2_b32 v[33:34], v6 offset0:163 offset1:238
	s_waitcnt lgkmcnt(2)
	v_lshrrev_b32_e32 v41, 16, v16
	v_lshrrev_b32_e32 v42, 16, v17
	s_waitcnt lgkmcnt(1)
	v_lshrrev_b32_e32 v43, 16, v18
	v_lshrrev_b32_e32 v44, 16, v19
	v_add_u32_e32 v7, 0xc00, v1
	ds_read2_b32 v[35:36], v7 offset0:57 offset1:132
	s_waitcnt lgkmcnt(1)
	v_lshrrev_b32_e32 v45, 16, v33
	v_lshrrev_b32_e32 v46, 16, v34
	ds_read_b32 v51, v1 offset:4500
	v_lshrrev_b32_e32 v49, 16, v37
	s_waitcnt lgkmcnt(1)
	v_lshrrev_b32_e32 v47, 16, v35
	v_lshrrev_b32_e32 v48, 16, v36
	;; [unrolled: 1-line block ×3, first 2 shown]
	s_waitcnt lgkmcnt(0)
	v_lshrrev_b32_e32 v52, 16, v51
	s_mov_b32 s2, 0xb9a8
	s_movk_i32 s3, 0x39a8
	s_mov_b32 s4, 0xbb64
	s_mov_b32 s5, 0xb61f
	s_movk_i32 s6, 0x361f
	s_movk_i32 s7, 0x3b64
	v_lshlrev_b32_sdwa v5, v5, v54 dst_sel:DWORD dst_unused:UNUSED_PAD src0_sel:DWORD src1_sel:BYTE_0
	v_cmp_gt_u32_e32 vcc, 25, v0
	s_waitcnt vmcnt(0)
	v_mul_f16_sdwa v57, v8, v56 dst_sel:DWORD dst_unused:UNUSED_PAD src0_sel:WORD_1 src1_sel:DWORD
	v_fma_f16 v57, v8, v12, -v57
	v_mul_f16_sdwa v12, v8, v12 dst_sel:DWORD dst_unused:UNUSED_PAD src0_sel:WORD_1 src1_sel:DWORD
	v_fma_f16 v12, v8, v56, v12
	v_lshrrev_b32_e32 v8, 16, v13
	v_mul_f16_sdwa v56, v9, v8 dst_sel:DWORD dst_unused:UNUSED_PAD src0_sel:WORD_1 src1_sel:DWORD
	v_fma_f16 v56, v9, v13, -v56
	v_mul_f16_sdwa v13, v9, v13 dst_sel:DWORD dst_unused:UNUSED_PAD src0_sel:WORD_1 src1_sel:DWORD
	v_fma_f16 v13, v9, v8, v13
	v_lshrrev_b32_e32 v8, 16, v14
	v_mul_f16_sdwa v9, v10, v8 dst_sel:DWORD dst_unused:UNUSED_PAD src0_sel:WORD_1 src1_sel:DWORD
	v_fma_f16 v58, v10, v14, -v9
	v_mul_f16_sdwa v9, v10, v14 dst_sel:DWORD dst_unused:UNUSED_PAD src0_sel:WORD_1 src1_sel:DWORD
	v_fma_f16 v14, v10, v8, v9
	v_mul_f16_sdwa v8, v40, v11 dst_sel:DWORD dst_unused:UNUSED_PAD src0_sel:DWORD src1_sel:WORD_1
	v_fma_f16 v59, v15, v11, -v8
	v_mul_f16_sdwa v8, v15, v11 dst_sel:DWORD dst_unused:UNUSED_PAD src0_sel:DWORD src1_sel:WORD_1
	v_fma_f16 v15, v40, v11, v8
	global_load_dwordx4 v[8:11], v55, s[8:9] offset:96
	s_waitcnt vmcnt(0)
	v_mul_f16_sdwa v40, v41, v8 dst_sel:DWORD dst_unused:UNUSED_PAD src0_sel:DWORD src1_sel:WORD_1
	v_fma_f16 v40, v16, v8, -v40
	v_mul_f16_sdwa v16, v16, v8 dst_sel:DWORD dst_unused:UNUSED_PAD src0_sel:DWORD src1_sel:WORD_1
	v_fma_f16 v16, v41, v8, v16
	v_mul_f16_sdwa v8, v42, v9 dst_sel:DWORD dst_unused:UNUSED_PAD src0_sel:DWORD src1_sel:WORD_1
	v_fma_f16 v41, v17, v9, -v8
	v_mul_f16_sdwa v8, v17, v9 dst_sel:DWORD dst_unused:UNUSED_PAD src0_sel:DWORD src1_sel:WORD_1
	v_fma_f16 v17, v42, v9, v8
	;; [unrolled: 4-line block ×4, first 2 shown]
	global_load_dwordx4 v[8:11], v55, s[8:9] offset:112
	v_sub_f16_e32 v43, v39, v43
	s_waitcnt vmcnt(0)
	v_mul_f16_sdwa v44, v45, v8 dst_sel:DWORD dst_unused:UNUSED_PAD src0_sel:DWORD src1_sel:WORD_1
	v_fma_f16 v44, v33, v8, -v44
	v_mul_f16_sdwa v33, v33, v8 dst_sel:DWORD dst_unused:UNUSED_PAD src0_sel:DWORD src1_sel:WORD_1
	v_fma_f16 v33, v45, v8, v33
	v_mul_f16_sdwa v8, v46, v9 dst_sel:DWORD dst_unused:UNUSED_PAD src0_sel:DWORD src1_sel:WORD_1
	v_fma_f16 v45, v34, v9, -v8
	v_mul_f16_sdwa v8, v34, v9 dst_sel:DWORD dst_unused:UNUSED_PAD src0_sel:DWORD src1_sel:WORD_1
	v_fma_f16 v34, v46, v9, v8
	;; [unrolled: 4-line block ×4, first 2 shown]
	global_load_dwordx3 v[8:10], v55, s[8:9] offset:128
	v_sub_f16_e32 v11, v15, v11
	v_sub_f16_e32 v45, v56, v45
	;; [unrolled: 1-line block ×3, first 2 shown]
	v_fma_f16 v15, v15, 2.0, -v11
	v_sub_f16_e32 v34, v13, v34
	v_sub_f16_e32 v11, v43, v11
	;; [unrolled: 1-line block ×4, first 2 shown]
	v_fma_f16 v13, v13, 2.0, -v34
	v_sub_f16_e32 v33, v12, v33
	v_sub_f16_e32 v35, v14, v35
	v_fma_f16 v12, v12, 2.0, -v33
	v_fma_f16 v14, v14, 2.0, -v35
	s_waitcnt vmcnt(0)
	s_barrier
	v_mul_f16_sdwa v36, v49, v8 dst_sel:DWORD dst_unused:UNUSED_PAD src0_sel:DWORD src1_sel:WORD_1
	v_fma_f16 v36, v37, v8, -v36
	v_mul_f16_sdwa v37, v37, v8 dst_sel:DWORD dst_unused:UNUSED_PAD src0_sel:DWORD src1_sel:WORD_1
	v_fma_f16 v8, v49, v8, v37
	v_mul_f16_sdwa v37, v50, v9 dst_sel:DWORD dst_unused:UNUSED_PAD src0_sel:DWORD src1_sel:WORD_1
	v_fma_f16 v37, v38, v9, -v37
	v_mul_f16_sdwa v38, v38, v9 dst_sel:DWORD dst_unused:UNUSED_PAD src0_sel:DWORD src1_sel:WORD_1
	v_fma_f16 v9, v50, v9, v38
	v_mul_f16_sdwa v38, v52, v10 dst_sel:DWORD dst_unused:UNUSED_PAD src0_sel:DWORD src1_sel:WORD_1
	v_mul_f16_sdwa v48, v51, v10 dst_sel:DWORD dst_unused:UNUSED_PAD src0_sel:DWORD src1_sel:WORD_1
	v_fma_f16 v38, v51, v10, -v38
	v_fma_f16 v10, v52, v10, v48
	v_lshrrev_b32_e32 v48, 16, v39
	v_sub_f16_e32 v9, v17, v9
	v_sub_f16_e32 v19, v48, v19
	;; [unrolled: 1-line block ×3, first 2 shown]
	v_fma_f16 v17, v17, 2.0, -v9
	v_sub_f16_e32 v9, v45, v9
	v_fma_f16 v39, v39, 2.0, -v43
	v_fma_f16 v49, v59, 2.0, -v47
	;; [unrolled: 1-line block ×4, first 2 shown]
	v_sub_f16_e32 v8, v16, v8
	v_sub_f16_e32 v10, v18, v10
	v_add_f16_e32 v47, v19, v47
	v_fma_f16 v43, v43, 2.0, -v11
	v_add_f16_e32 v37, v34, v37
	v_fma_f16 v45, v45, 2.0, -v9
	v_fma_f16 v48, v48, 2.0, -v19
	v_sub_f16_e32 v36, v40, v36
	v_fma_f16 v16, v16, 2.0, -v8
	v_sub_f16_e32 v38, v42, v38
	v_fma_f16 v18, v18, 2.0, -v10
	v_fma_f16 v19, v19, 2.0, -v47
	;; [unrolled: 1-line block ×3, first 2 shown]
	v_sub_f16_e32 v8, v44, v8
	v_sub_f16_e32 v10, v46, v10
	v_fma_f16 v55, v45, s2, v43
	v_fma_f16 v51, v57, 2.0, -v44
	v_fma_f16 v40, v40, 2.0, -v36
	;; [unrolled: 1-line block ×4, first 2 shown]
	v_add_f16_e32 v36, v33, v36
	v_fma_f16 v44, v44, 2.0, -v8
	v_add_f16_e32 v38, v35, v38
	v_fma_f16 v46, v46, 2.0, -v10
	v_fma_f16 v56, v34, s2, v19
	v_fma_f16 v34, v34, s2, v55
	;; [unrolled: 1-line block ×3, first 2 shown]
	v_fma_f16 v33, v33, 2.0, -v36
	v_fma_f16 v35, v35, 2.0, -v38
	v_fma_f16 v45, v45, s3, v56
	v_fma_f16 v56, v37, s3, v47
	;; [unrolled: 1-line block ×4, first 2 shown]
	v_sub_f16_e32 v49, v39, v49
	v_sub_f16_e32 v17, v13, v17
	;; [unrolled: 1-line block ×4, first 2 shown]
	v_fma_f16 v9, v9, s3, v56
	v_fma_f16 v56, v35, s2, v33
	;; [unrolled: 1-line block ×3, first 2 shown]
	v_sub_f16_e32 v15, v48, v15
	v_sub_f16_e32 v41, v50, v41
	v_fma_f16 v13, v13, 2.0, -v17
	v_sub_f16_e32 v16, v12, v16
	v_sub_f16_e32 v42, v52, v42
	v_fma_f16 v14, v14, 2.0, -v18
	v_fma_f16 v43, v43, 2.0, -v34
	v_sub_f16_e32 v17, v49, v17
	v_fma_f16 v46, v46, s3, v56
	v_fma_f16 v44, v44, 2.0, -v35
	v_sub_f16_e32 v18, v40, v18
	v_fma_f16 v55, v10, s3, v8
	v_fma_f16 v39, v39, 2.0, -v49
	v_fma_f16 v50, v50, 2.0, -v41
	;; [unrolled: 1-line block ×5, first 2 shown]
	v_add_f16_e32 v41, v15, v41
	v_fma_f16 v49, v49, 2.0, -v17
	v_fma_f16 v33, v33, 2.0, -v46
	v_add_f16_e32 v42, v16, v42
	v_fma_f16 v40, v40, 2.0, -v18
	v_fma_f16 v56, v38, s3, v36
	v_fma_f16 v38, v38, s2, v55
	;; [unrolled: 1-line block ×3, first 2 shown]
	v_fma_f16 v48, v48, 2.0, -v15
	v_fma_f16 v12, v12, 2.0, -v16
	;; [unrolled: 1-line block ×5, first 2 shown]
	v_fma_f16 v10, v10, s3, v56
	v_fma_f16 v8, v8, 2.0, -v38
	v_fma_f16 v56, v33, s4, v19
	v_fma_f16 v55, v33, s5, v55
	;; [unrolled: 1-line block ×3, first 2 shown]
	v_fma_f16 v47, v47, 2.0, -v9
	v_fma_f16 v36, v36, 2.0, -v10
	v_fma_f16 v44, v44, s6, v56
	v_fma_f16 v56, v16, s2, v15
	;; [unrolled: 1-line block ×13, first 2 shown]
	v_fma_f16 v56, v34, 2.0, -v46
	v_fma_f16 v34, v42, s3, v41
	v_fma_f16 v42, v42, s2, v33
	v_fma_f16 v33, v38, s7, v37
	v_sub_f16_e32 v50, v39, v50
	v_sub_f16_e32 v13, v48, v13
	;; [unrolled: 1-line block ×4, first 2 shown]
	v_fma_f16 v33, v10, s5, v33
	s_movk_i32 s2, 0x640
	v_fma_f16 v51, v51, 2.0, -v52
	v_fma_f16 v12, v12, 2.0, -v14
	;; [unrolled: 1-line block ×6, first 2 shown]
	v_sub_f16_e32 v14, v50, v14
	v_add_f16_e32 v52, v13, v52
	v_fma_f16 v18, v18, s3, v34
	v_fma_f16 v34, v10, s7, v9
	v_fma_f16 v10, v37, 2.0, -v33
	v_mad_u32_u24 v37, v53, s2, 0
	v_fma_f16 v39, v39, 2.0, -v50
	v_fma_f16 v48, v48, 2.0, -v13
	;; [unrolled: 1-line block ×5, first 2 shown]
	v_fma_f16 v34, v38, s6, v34
	v_add3_u32 v5, v37, v5, v24
	v_pack_b32_f16 v15, v49, v15
	v_pack_b32_f16 v11, v11, v47
	v_fma_f16 v17, v17, 2.0, -v42
	v_fma_f16 v41, v41, 2.0, -v18
	;; [unrolled: 1-line block ×3, first 2 shown]
	ds_write2_b32 v5, v15, v11 offset0:50 offset1:75
	v_pack_b32_f16 v11, v50, v13
	v_pack_b32_f16 v13, v56, v45
	v_sub_f16_e32 v51, v39, v51
	v_sub_f16_e32 v12, v48, v12
	ds_write2_b32 v5, v11, v13 offset0:100 offset1:125
	v_pack_b32_f16 v11, v17, v41
	v_pack_b32_f16 v9, v10, v9
	v_fma_f16 v39, v39, 2.0, -v51
	v_fma_f16 v48, v48, 2.0, -v12
	;; [unrolled: 1-line block ×4, first 2 shown]
	ds_write2_b32 v5, v11, v9 offset0:150 offset1:175
	v_pack_b32_f16 v9, v51, v12
	v_pack_b32_f16 v10, v55, v44
	;; [unrolled: 1-line block ×4, first 2 shown]
	ds_write2_b32 v5, v9, v10 offset0:200 offset1:225
	v_pack_b32_f16 v9, v16, v40
	v_pack_b32_f16 v8, v36, v8
	v_add_u32_e32 v10, 0x200, v5
	ds_write2_b32 v5, v24, v19 offset1:25
	ds_write2_b32 v10, v9, v8 offset0:122 offset1:147
	v_pack_b32_f16 v8, v14, v52
	v_pack_b32_f16 v9, v46, v35
	v_add_u32_e32 v5, 0x400, v5
	ds_write2_b32 v5, v8, v9 offset0:44 offset1:69
	v_pack_b32_f16 v8, v42, v18
	v_pack_b32_f16 v9, v33, v34
	ds_write2_b32 v5, v8, v9 offset0:94 offset1:119
	v_add_u32_e32 v5, 0xa00, v1
	s_waitcnt lgkmcnt(0)
	s_barrier
	ds_read_b32 v24, v25
	ds_read2_b32 v[14:15], v32 offset0:144 offset1:219
	ds_read2_b32 v[10:11], v5 offset0:60 offset1:160
	;; [unrolled: 1-line block ×6, first 2 shown]
	v_add_u32_e32 v6, 0x1000, v1
	ds_read2_b32 v[12:13], v6 offset0:1 offset1:76
	s_and_saveexec_b64 s[2:3], vcc
	s_cbranch_execz .LBB0_24
; %bb.23:
	ds_read_b32 v33, v1 offset:1500
	ds_read_b32 v21, v1 offset:3100
	;; [unrolled: 1-line block ×3, first 2 shown]
	s_waitcnt lgkmcnt(2)
	v_lshrrev_b32_e32 v34, 16, v33
	s_waitcnt lgkmcnt(1)
	v_lshrrev_b32_e32 v30, 16, v21
	;; [unrolled: 2-line block ×3, first 2 shown]
.LBB0_24:
	s_or_b64 exec, exec, s[2:3]
	v_lshlrev_b32_e32 v6, 1, v0
	v_mov_b32_e32 v7, 0
	v_lshlrev_b64 v[35:36], 2, v[6:7]
	v_lshlrev_b32_e32 v37, 1, v27
	v_mov_b32_e32 v38, v7
	v_mov_b32_e32 v25, s9
	v_add_co_u32_e64 v35, s[2:3], s8, v35
	v_lshlrev_b64 v[37:38], 2, v[37:38]
	v_addc_co_u32_e64 v36, s[2:3], v25, v36, s[2:3]
	v_lshlrev_b32_e32 v27, 1, v28
	v_mov_b32_e32 v28, v7
	v_add_co_u32_e64 v37, s[2:3], s8, v37
	v_lshlrev_b64 v[27:28], 2, v[27:28]
	v_addc_co_u32_e64 v38, s[2:3], v25, v38, s[2:3]
	v_add_co_u32_e64 v27, s[2:3], s8, v27
	v_addc_co_u32_e64 v28, s[2:3], v25, v28, s[2:3]
	global_load_dwordx2 v[35:36], v[35:36], off offset:1580
	s_nop 0
	global_load_dwordx2 v[39:40], v[37:38], off offset:1580
	global_load_dwordx2 v[41:42], v[27:28], off offset:1580
	v_lshlrev_b32_e32 v27, 1, v20
	v_mov_b32_e32 v28, v7
	v_lshlrev_b64 v[27:28], 2, v[27:28]
	v_add_u32_e32 v6, 0x258, v6
	v_add_co_u32_e64 v27, s[2:3], s8, v27
	v_lshlrev_b64 v[37:38], 2, v[6:7]
	v_addc_co_u32_e64 v28, s[2:3], v25, v28, s[2:3]
	v_add_co_u32_e64 v37, s[2:3], s8, v37
	global_load_dwordx2 v[27:28], v[27:28], off offset:1580
	v_addc_co_u32_e64 v38, s[2:3], v25, v38, s[2:3]
	global_load_dwordx2 v[37:38], v[37:38], off offset:1580
	s_waitcnt lgkmcnt(0)
	v_lshrrev_b32_e32 v43, 16, v12
	v_lshrrev_b32_e32 v45, 16, v10
	;; [unrolled: 1-line block ×8, first 2 shown]
	s_movk_i32 s4, 0x3aee
	s_mov_b32 s5, 0xbaee
	v_lshrrev_b32_e32 v48, 16, v17
	v_lshrrev_b32_e32 v49, 16, v18
	v_lshl_add_u32 v6, v23, 2, v26
	v_lshrrev_b32_e32 v23, 16, v8
	v_lshrrev_b32_e32 v47, 16, v19
	;; [unrolled: 1-line block ×5, first 2 shown]
	s_waitcnt vmcnt(0)
	s_barrier
	v_mul_f16_sdwa v54, v35, v53 dst_sel:DWORD dst_unused:UNUSED_PAD src0_sel:WORD_1 src1_sel:DWORD
	v_mul_f16_sdwa v56, v36, v52 dst_sel:DWORD dst_unused:UNUSED_PAD src0_sel:WORD_1 src1_sel:DWORD
	;; [unrolled: 1-line block ×4, first 2 shown]
	v_fma_f16 v14, v35, v14, -v54
	v_fma_f16 v11, v36, v11, -v56
	v_fma_f16 v35, v35, v53, v55
	v_fma_f16 v36, v36, v52, v57
	v_mul_f16_sdwa v52, v39, v51 dst_sel:DWORD dst_unused:UNUSED_PAD src0_sel:WORD_1 src1_sel:DWORD
	v_mul_f16_sdwa v54, v40, v50 dst_sel:DWORD dst_unused:UNUSED_PAD src0_sel:WORD_1 src1_sel:DWORD
	;; [unrolled: 1-line block ×4, first 2 shown]
	v_fma_f16 v15, v39, v15, -v52
	v_mul_f16_sdwa v62, v43, v28 dst_sel:DWORD dst_unused:UNUSED_PAD src0_sel:DWORD src1_sel:WORD_1
	v_mul_f16_sdwa v63, v12, v28 dst_sel:DWORD dst_unused:UNUSED_PAD src0_sel:DWORD src1_sel:WORD_1
	v_fma_f16 v12, v12, v28, -v62
	v_fma_f16 v28, v43, v28, v63
	v_mul_f16_sdwa v43, v45, v37 dst_sel:DWORD dst_unused:UNUSED_PAD src0_sel:DWORD src1_sel:WORD_1
	v_fma_f16 v43, v10, v37, -v43
	v_mul_f16_sdwa v10, v10, v37 dst_sel:DWORD dst_unused:UNUSED_PAD src0_sel:DWORD src1_sel:WORD_1
	v_fma_f16 v10, v45, v37, v10
	v_mul_f16_sdwa v37, v46, v38 dst_sel:DWORD dst_unused:UNUSED_PAD src0_sel:DWORD src1_sel:WORD_1
	v_fma_f16 v37, v13, v38, -v37
	v_mul_f16_sdwa v13, v13, v38 dst_sel:DWORD dst_unused:UNUSED_PAD src0_sel:DWORD src1_sel:WORD_1
	v_add_f16_e32 v45, v14, v11
	v_fma_f16 v13, v46, v38, v13
	v_add_f16_e32 v38, v24, v14
	v_fma_f16 v24, v45, -0.5, v24
	v_sub_f16_e32 v45, v35, v36
	v_fma_f16 v16, v40, v16, -v54
	v_fma_f16 v46, v45, s4, v24
	v_fma_f16 v24, v45, s5, v24
	v_add_f16_e32 v45, v20, v35
	v_add_f16_e32 v35, v35, v36
	v_fma_f16 v39, v39, v51, v53
	v_fma_f16 v40, v40, v50, v55
	v_add_f16_e32 v38, v38, v11
	v_fma_f16 v20, v35, -0.5, v20
	v_sub_f16_e32 v11, v14, v11
	v_add_f16_e32 v35, v15, v16
	v_mul_f16_sdwa v56, v41, v49 dst_sel:DWORD dst_unused:UNUSED_PAD src0_sel:WORD_1 src1_sel:DWORD
	v_mul_f16_sdwa v58, v42, v48 dst_sel:DWORD dst_unused:UNUSED_PAD src0_sel:WORD_1 src1_sel:DWORD
	v_fma_f16 v14, v11, s5, v20
	v_fma_f16 v11, v11, s4, v20
	v_add_f16_e32 v20, v8, v15
	v_fma_f16 v8, v35, -0.5, v8
	v_sub_f16_e32 v35, v39, v40
	v_mul_f16_sdwa v57, v41, v18 dst_sel:DWORD dst_unused:UNUSED_PAD src0_sel:WORD_1 src1_sel:DWORD
	v_mul_f16_sdwa v59, v42, v17 dst_sel:DWORD dst_unused:UNUSED_PAD src0_sel:WORD_1 src1_sel:DWORD
	v_fma_f16 v18, v41, v18, -v56
	v_fma_f16 v17, v42, v17, -v58
	v_add_f16_e32 v45, v45, v36
	v_fma_f16 v36, v35, s4, v8
	v_fma_f16 v8, v35, s5, v8
	v_add_f16_e32 v35, v23, v39
	v_add_f16_e32 v39, v39, v40
	v_fma_f16 v41, v41, v49, v57
	v_fma_f16 v42, v42, v48, v59
	v_fma_f16 v23, v39, -0.5, v23
	v_sub_f16_e32 v15, v15, v16
	v_add_f16_e32 v39, v18, v17
	v_mul_f16_sdwa v60, v27, v47 dst_sel:DWORD dst_unused:UNUSED_PAD src0_sel:WORD_1 src1_sel:DWORD
	v_add_f16_e32 v20, v20, v16
	v_fma_f16 v16, v15, s5, v23
	v_fma_f16 v15, v15, s4, v23
	v_add_f16_e32 v23, v9, v18
	v_fma_f16 v9, v39, -0.5, v9
	v_sub_f16_e32 v39, v41, v42
	v_mul_f16_sdwa v61, v27, v19 dst_sel:DWORD dst_unused:UNUSED_PAD src0_sel:WORD_1 src1_sel:DWORD
	v_fma_f16 v19, v27, v19, -v60
	v_add_f16_e32 v35, v35, v40
	v_fma_f16 v40, v39, s4, v9
	v_fma_f16 v9, v39, s5, v9
	v_add_f16_e32 v39, v25, v41
	v_add_f16_e32 v41, v41, v42
	v_fma_f16 v27, v27, v47, v61
	v_add_f16_e32 v23, v23, v17
	v_fma_f16 v25, v41, -0.5, v25
	v_sub_f16_e32 v17, v18, v17
	v_add_f16_e32 v41, v19, v12
	v_fma_f16 v18, v17, s5, v25
	v_fma_f16 v17, v17, s4, v25
	v_add_f16_e32 v25, v4, v19
	v_fma_f16 v4, v41, -0.5, v4
	v_sub_f16_e32 v41, v27, v28
	v_add_f16_e32 v39, v39, v42
	v_fma_f16 v42, v41, s4, v4
	v_fma_f16 v4, v41, s5, v4
	v_add_f16_e32 v41, v26, v27
	v_add_f16_e32 v27, v27, v28
	;; [unrolled: 1-line block ×3, first 2 shown]
	v_fma_f16 v26, v27, -0.5, v26
	v_sub_f16_e32 v12, v19, v12
	v_add_f16_e32 v27, v43, v37
	v_fma_f16 v19, v12, s5, v26
	v_fma_f16 v12, v12, s4, v26
	v_add_f16_e32 v26, v5, v43
	v_fma_f16 v5, v27, -0.5, v5
	v_sub_f16_e32 v27, v10, v13
	v_add_f16_e32 v41, v41, v28
	v_fma_f16 v28, v27, s4, v5
	v_fma_f16 v5, v27, s5, v5
	v_add_f16_e32 v27, v44, v10
	v_add_f16_e32 v10, v10, v13
	;; [unrolled: 1-line block ×3, first 2 shown]
	v_fma_f16 v10, v10, -0.5, v44
	v_sub_f16_e32 v13, v43, v37
	v_pack_b32_f16 v11, v24, v11
	v_add_f16_e32 v26, v26, v37
	v_fma_f16 v37, v13, s5, v10
	v_fma_f16 v10, v13, s4, v10
	v_pack_b32_f16 v13, v38, v45
	ds_write_b32 v1, v11 offset:3200
	v_pack_b32_f16 v11, v20, v35
	ds_write2_b32 v1, v13, v11 offset1:75
	v_pack_b32_f16 v11, v36, v16
	v_pack_b32_f16 v8, v8, v15
	;; [unrolled: 1-line block ×3, first 2 shown]
	v_add_u32_e32 v16, 0x600, v6
	ds_write2_b32 v16, v11, v15 offset0:91 offset1:166
	v_pack_b32_f16 v9, v9, v17
	v_add_u32_e32 v11, 0xc00, v6
	v_pack_b32_f16 v14, v46, v14
	v_pack_b32_f16 v13, v23, v39
	ds_write2_b32 v11, v8, v9 offset0:107 offset1:182
	v_pack_b32_f16 v8, v25, v41
	v_pack_b32_f16 v9, v26, v27
	ds_write2_b32 v1, v13, v8 offset0:150 offset1:225
	;; [unrolled: 3-line block ×3, first 2 shown]
	v_pack_b32_f16 v9, v28, v37
	v_add_u32_e32 v11, 0x800, v6
	v_pack_b32_f16 v5, v5, v10
	v_add_u32_e32 v6, 0x1000, v6
	ds_write2_b32 v11, v8, v9 offset0:113 offset1:188
	ds_write2_b32 v6, v4, v5 offset0:1 offset1:76
	s_and_saveexec_b64 s[2:3], vcc
	s_cbranch_execz .LBB0_26
; %bb.25:
	v_not_b32_e32 v4, 24
	v_mov_b32_e32 v5, 0x177
	v_cndmask_b32_e32 v4, v4, v5, vcc
	v_add_lshl_u32 v6, v0, v4, 1
	v_lshlrev_b64 v[4:5], 2, v[6:7]
	v_mov_b32_e32 v6, s9
	v_add_co_u32_e32 v4, vcc, s8, v4
	v_addc_co_u32_e32 v5, vcc, v6, v5, vcc
	global_load_dwordx2 v[4:5], v[4:5], off offset:1580
	s_waitcnt vmcnt(0)
	v_mul_f16_sdwa v6, v29, v5 dst_sel:DWORD dst_unused:UNUSED_PAD src0_sel:DWORD src1_sel:WORD_1
	v_mul_f16_sdwa v7, v21, v4 dst_sel:DWORD dst_unused:UNUSED_PAD src0_sel:DWORD src1_sel:WORD_1
	;; [unrolled: 1-line block ×4, first 2 shown]
	v_fma_f16 v6, v31, v5, v6
	v_fma_f16 v7, v30, v4, v7
	v_fma_f16 v4, v21, v4, -v8
	v_fma_f16 v5, v29, v5, -v9
	v_add_f16_e32 v8, v34, v7
	v_add_f16_e32 v9, v33, v4
	v_sub_f16_e32 v10, v4, v5
	v_add_f16_e32 v11, v7, v6
	v_add_f16_e32 v4, v4, v5
	v_sub_f16_e32 v7, v7, v6
	v_add_f16_e32 v6, v8, v6
	v_fma_f16 v8, v11, -0.5, v34
	v_fma_f16 v4, v4, -0.5, v33
	v_add_f16_e32 v5, v9, v5
	v_fma_f16 v9, v10, s4, v8
	v_fma_f16 v8, v10, s5, v8
	;; [unrolled: 1-line block ×4, first 2 shown]
	v_pack_b32_f16 v5, v5, v6
	v_pack_b32_f16 v4, v4, v8
	ds_write_b32 v1, v5 offset:1500
	v_pack_b32_f16 v5, v10, v9
	ds_write_b32 v1, v4 offset:3100
	ds_write_b32 v1, v5 offset:4700
.LBB0_26:
	s_or_b64 exec, exec, s[2:3]
	s_waitcnt lgkmcnt(0)
	s_barrier
	s_and_saveexec_b64 s[2:3], s[0:1]
	s_cbranch_execz .LBB0_28
; %bb.27:
	v_lshl_add_u32 v6, v0, 2, v22
	v_mov_b32_e32 v1, 0
	ds_read2_b32 v[4:5], v6 offset1:75
	v_mov_b32_e32 v7, s13
	v_add_co_u32_e32 v8, vcc, s12, v2
	v_addc_co_u32_e32 v7, vcc, v7, v3, vcc
	v_lshlrev_b64 v[2:3], 2, v[0:1]
	v_add_co_u32_e32 v2, vcc, v8, v2
	v_addc_co_u32_e32 v3, vcc, v7, v3, vcc
	s_waitcnt lgkmcnt(0)
	global_store_dword v[2:3], v4, off
	v_add_u32_e32 v2, 0x4b, v0
	v_mov_b32_e32 v3, v1
	v_lshlrev_b64 v[2:3], 2, v[2:3]
	v_add_co_u32_e32 v2, vcc, v8, v2
	v_addc_co_u32_e32 v3, vcc, v7, v3, vcc
	global_store_dword v[2:3], v5, off
	v_add_u32_e32 v2, 0x96, v0
	v_mov_b32_e32 v3, v1
	ds_read2_b32 v[4:5], v6 offset0:150 offset1:225
	v_lshlrev_b64 v[2:3], 2, v[2:3]
	v_add_co_u32_e32 v2, vcc, v8, v2
	v_addc_co_u32_e32 v3, vcc, v7, v3, vcc
	s_waitcnt lgkmcnt(0)
	global_store_dword v[2:3], v4, off
	v_add_u32_e32 v2, 0xe1, v0
	v_mov_b32_e32 v3, v1
	v_lshlrev_b64 v[2:3], 2, v[2:3]
	v_add_u32_e32 v4, 0x400, v6
	v_add_co_u32_e32 v2, vcc, v8, v2
	v_addc_co_u32_e32 v3, vcc, v7, v3, vcc
	global_store_dword v[2:3], v5, off
	v_add_u32_e32 v2, 0x12c, v0
	v_mov_b32_e32 v3, v1
	ds_read2_b32 v[4:5], v4 offset0:44 offset1:119
	v_lshlrev_b64 v[2:3], 2, v[2:3]
	v_add_co_u32_e32 v2, vcc, v8, v2
	v_addc_co_u32_e32 v3, vcc, v7, v3, vcc
	s_waitcnt lgkmcnt(0)
	global_store_dword v[2:3], v4, off
	v_add_u32_e32 v2, 0x177, v0
	v_mov_b32_e32 v3, v1
	v_lshlrev_b64 v[2:3], 2, v[2:3]
	v_add_u32_e32 v4, 0x600, v6
	v_add_co_u32_e32 v2, vcc, v8, v2
	v_addc_co_u32_e32 v3, vcc, v7, v3, vcc
	global_store_dword v[2:3], v5, off
	v_add_u32_e32 v2, 0x1c2, v0
	v_mov_b32_e32 v3, v1
	ds_read2_b32 v[4:5], v4 offset0:66 offset1:141
	v_lshlrev_b64 v[2:3], 2, v[2:3]
	v_add_co_u32_e32 v2, vcc, v8, v2
	v_addc_co_u32_e32 v3, vcc, v7, v3, vcc
	s_waitcnt lgkmcnt(0)
	global_store_dword v[2:3], v4, off
	v_add_u32_e32 v2, 0x20d, v0
	v_mov_b32_e32 v3, v1
	v_lshlrev_b64 v[2:3], 2, v[2:3]
	v_add_u32_e32 v4, 0x800, v6
	v_add_co_u32_e32 v2, vcc, v8, v2
	v_addc_co_u32_e32 v3, vcc, v7, v3, vcc
	global_store_dword v[2:3], v5, off
	v_add_u32_e32 v2, 0x258, v0
	v_mov_b32_e32 v3, v1
	ds_read2_b32 v[4:5], v4 offset0:88 offset1:163
	v_lshlrev_b64 v[2:3], 2, v[2:3]
	v_add_co_u32_e32 v2, vcc, v8, v2
	v_addc_co_u32_e32 v3, vcc, v7, v3, vcc
	s_waitcnt lgkmcnt(0)
	global_store_dword v[2:3], v4, off
	v_add_u32_e32 v2, 0x2a3, v0
	v_mov_b32_e32 v3, v1
	v_lshlrev_b64 v[2:3], 2, v[2:3]
	v_add_u32_e32 v4, 0xa00, v6
	v_add_co_u32_e32 v2, vcc, v8, v2
	v_addc_co_u32_e32 v3, vcc, v7, v3, vcc
	global_store_dword v[2:3], v5, off
	v_add_u32_e32 v2, 0x2ee, v0
	v_mov_b32_e32 v3, v1
	ds_read2_b32 v[4:5], v4 offset0:110 offset1:185
	v_lshlrev_b64 v[2:3], 2, v[2:3]
	v_add_co_u32_e32 v2, vcc, v8, v2
	v_addc_co_u32_e32 v3, vcc, v7, v3, vcc
	s_waitcnt lgkmcnt(0)
	global_store_dword v[2:3], v4, off
	v_add_u32_e32 v2, 0x339, v0
	v_mov_b32_e32 v3, v1
	v_lshlrev_b64 v[2:3], 2, v[2:3]
	v_add_u32_e32 v4, 0xc00, v6
	v_add_co_u32_e32 v2, vcc, v8, v2
	v_addc_co_u32_e32 v3, vcc, v7, v3, vcc
	global_store_dword v[2:3], v5, off
	v_add_u32_e32 v2, 0x384, v0
	v_mov_b32_e32 v3, v1
	ds_read2_b32 v[4:5], v4 offset0:132 offset1:207
	v_lshlrev_b64 v[2:3], 2, v[2:3]
	v_add_co_u32_e32 v2, vcc, v8, v2
	v_addc_co_u32_e32 v3, vcc, v7, v3, vcc
	s_waitcnt lgkmcnt(0)
	global_store_dword v[2:3], v4, off
	v_add_u32_e32 v2, 0x3cf, v0
	v_mov_b32_e32 v3, v1
	v_lshlrev_b64 v[2:3], 2, v[2:3]
	v_add_u32_e32 v4, 0x1000, v6
	v_add_co_u32_e32 v2, vcc, v8, v2
	v_addc_co_u32_e32 v3, vcc, v7, v3, vcc
	global_store_dword v[2:3], v5, off
	v_add_u32_e32 v2, 0x41a, v0
	v_mov_b32_e32 v3, v1
	v_lshlrev_b64 v[2:3], 2, v[2:3]
	ds_read2_b32 v[4:5], v4 offset0:26 offset1:101
	v_add_u32_e32 v0, 0x465, v0
	v_add_co_u32_e32 v2, vcc, v8, v2
	v_lshlrev_b64 v[0:1], 2, v[0:1]
	v_addc_co_u32_e32 v3, vcc, v7, v3, vcc
	v_add_co_u32_e32 v0, vcc, v8, v0
	v_addc_co_u32_e32 v1, vcc, v7, v1, vcc
	s_waitcnt lgkmcnt(0)
	global_store_dword v[2:3], v4, off
	global_store_dword v[0:1], v5, off
.LBB0_28:
	s_endpgm
	.section	.rodata,"a",@progbits
	.p2align	6, 0x0
	.amdhsa_kernel fft_rtc_fwd_len1200_factors_5_5_16_3_wgs_225_tpt_75_halfLds_half_ip_CI_unitstride_sbrr_C2R_dirReg
		.amdhsa_group_segment_fixed_size 0
		.amdhsa_private_segment_fixed_size 0
		.amdhsa_kernarg_size 88
		.amdhsa_user_sgpr_count 6
		.amdhsa_user_sgpr_private_segment_buffer 1
		.amdhsa_user_sgpr_dispatch_ptr 0
		.amdhsa_user_sgpr_queue_ptr 0
		.amdhsa_user_sgpr_kernarg_segment_ptr 1
		.amdhsa_user_sgpr_dispatch_id 0
		.amdhsa_user_sgpr_flat_scratch_init 0
		.amdhsa_user_sgpr_private_segment_size 0
		.amdhsa_uses_dynamic_stack 0
		.amdhsa_system_sgpr_private_segment_wavefront_offset 0
		.amdhsa_system_sgpr_workgroup_id_x 1
		.amdhsa_system_sgpr_workgroup_id_y 0
		.amdhsa_system_sgpr_workgroup_id_z 0
		.amdhsa_system_sgpr_workgroup_info 0
		.amdhsa_system_vgpr_workitem_id 0
		.amdhsa_next_free_vgpr 67
		.amdhsa_next_free_sgpr 22
		.amdhsa_reserve_vcc 1
		.amdhsa_reserve_flat_scratch 0
		.amdhsa_float_round_mode_32 0
		.amdhsa_float_round_mode_16_64 0
		.amdhsa_float_denorm_mode_32 3
		.amdhsa_float_denorm_mode_16_64 3
		.amdhsa_dx10_clamp 1
		.amdhsa_ieee_mode 1
		.amdhsa_fp16_overflow 0
		.amdhsa_exception_fp_ieee_invalid_op 0
		.amdhsa_exception_fp_denorm_src 0
		.amdhsa_exception_fp_ieee_div_zero 0
		.amdhsa_exception_fp_ieee_overflow 0
		.amdhsa_exception_fp_ieee_underflow 0
		.amdhsa_exception_fp_ieee_inexact 0
		.amdhsa_exception_int_div_zero 0
	.end_amdhsa_kernel
	.text
.Lfunc_end0:
	.size	fft_rtc_fwd_len1200_factors_5_5_16_3_wgs_225_tpt_75_halfLds_half_ip_CI_unitstride_sbrr_C2R_dirReg, .Lfunc_end0-fft_rtc_fwd_len1200_factors_5_5_16_3_wgs_225_tpt_75_halfLds_half_ip_CI_unitstride_sbrr_C2R_dirReg
                                        ; -- End function
	.section	.AMDGPU.csdata,"",@progbits
; Kernel info:
; codeLenInByte = 11784
; NumSgprs: 26
; NumVgprs: 67
; ScratchSize: 0
; MemoryBound: 0
; FloatMode: 240
; IeeeMode: 1
; LDSByteSize: 0 bytes/workgroup (compile time only)
; SGPRBlocks: 3
; VGPRBlocks: 16
; NumSGPRsForWavesPerEU: 26
; NumVGPRsForWavesPerEU: 67
; Occupancy: 3
; WaveLimiterHint : 1
; COMPUTE_PGM_RSRC2:SCRATCH_EN: 0
; COMPUTE_PGM_RSRC2:USER_SGPR: 6
; COMPUTE_PGM_RSRC2:TRAP_HANDLER: 0
; COMPUTE_PGM_RSRC2:TGID_X_EN: 1
; COMPUTE_PGM_RSRC2:TGID_Y_EN: 0
; COMPUTE_PGM_RSRC2:TGID_Z_EN: 0
; COMPUTE_PGM_RSRC2:TIDIG_COMP_CNT: 0
	.type	__hip_cuid_15e97e618ca0d522,@object ; @__hip_cuid_15e97e618ca0d522
	.section	.bss,"aw",@nobits
	.globl	__hip_cuid_15e97e618ca0d522
__hip_cuid_15e97e618ca0d522:
	.byte	0                               ; 0x0
	.size	__hip_cuid_15e97e618ca0d522, 1

	.ident	"AMD clang version 19.0.0git (https://github.com/RadeonOpenCompute/llvm-project roc-6.4.0 25133 c7fe45cf4b819c5991fe208aaa96edf142730f1d)"
	.section	".note.GNU-stack","",@progbits
	.addrsig
	.addrsig_sym __hip_cuid_15e97e618ca0d522
	.amdgpu_metadata
---
amdhsa.kernels:
  - .args:
      - .actual_access:  read_only
        .address_space:  global
        .offset:         0
        .size:           8
        .value_kind:     global_buffer
      - .offset:         8
        .size:           8
        .value_kind:     by_value
      - .actual_access:  read_only
        .address_space:  global
        .offset:         16
        .size:           8
        .value_kind:     global_buffer
      - .actual_access:  read_only
        .address_space:  global
        .offset:         24
        .size:           8
        .value_kind:     global_buffer
      - .offset:         32
        .size:           8
        .value_kind:     by_value
      - .actual_access:  read_only
        .address_space:  global
        .offset:         40
        .size:           8
        .value_kind:     global_buffer
      - .actual_access:  read_only
        .address_space:  global
        .offset:         48
        .size:           8
        .value_kind:     global_buffer
      - .offset:         56
        .size:           4
        .value_kind:     by_value
      - .actual_access:  read_only
        .address_space:  global
        .offset:         64
        .size:           8
        .value_kind:     global_buffer
      - .actual_access:  read_only
        .address_space:  global
        .offset:         72
        .size:           8
        .value_kind:     global_buffer
      - .address_space:  global
        .offset:         80
        .size:           8
        .value_kind:     global_buffer
    .group_segment_fixed_size: 0
    .kernarg_segment_align: 8
    .kernarg_segment_size: 88
    .language:       OpenCL C
    .language_version:
      - 2
      - 0
    .max_flat_workgroup_size: 225
    .name:           fft_rtc_fwd_len1200_factors_5_5_16_3_wgs_225_tpt_75_halfLds_half_ip_CI_unitstride_sbrr_C2R_dirReg
    .private_segment_fixed_size: 0
    .sgpr_count:     26
    .sgpr_spill_count: 0
    .symbol:         fft_rtc_fwd_len1200_factors_5_5_16_3_wgs_225_tpt_75_halfLds_half_ip_CI_unitstride_sbrr_C2R_dirReg.kd
    .uniform_work_group_size: 1
    .uses_dynamic_stack: false
    .vgpr_count:     67
    .vgpr_spill_count: 0
    .wavefront_size: 64
amdhsa.target:   amdgcn-amd-amdhsa--gfx906
amdhsa.version:
  - 1
  - 2
...

	.end_amdgpu_metadata
